;; amdgpu-corpus repo=ROCm/rocFFT kind=compiled arch=gfx1201 opt=O3
	.text
	.amdgcn_target "amdgcn-amd-amdhsa--gfx1201"
	.amdhsa_code_object_version 6
	.protected	fft_rtc_fwd_len1960_factors_4_7_2_7_5_wgs_56_tpt_56_halfLds_sp_op_CI_CI_unitstride_sbrr_dirReg ; -- Begin function fft_rtc_fwd_len1960_factors_4_7_2_7_5_wgs_56_tpt_56_halfLds_sp_op_CI_CI_unitstride_sbrr_dirReg
	.globl	fft_rtc_fwd_len1960_factors_4_7_2_7_5_wgs_56_tpt_56_halfLds_sp_op_CI_CI_unitstride_sbrr_dirReg
	.p2align	8
	.type	fft_rtc_fwd_len1960_factors_4_7_2_7_5_wgs_56_tpt_56_halfLds_sp_op_CI_CI_unitstride_sbrr_dirReg,@function
fft_rtc_fwd_len1960_factors_4_7_2_7_5_wgs_56_tpt_56_halfLds_sp_op_CI_CI_unitstride_sbrr_dirReg: ; @fft_rtc_fwd_len1960_factors_4_7_2_7_5_wgs_56_tpt_56_halfLds_sp_op_CI_CI_unitstride_sbrr_dirReg
; %bb.0:
	s_clause 0x2
	s_load_b128 s[8:11], s[0:1], 0x0
	s_load_b128 s[4:7], s[0:1], 0x58
	;; [unrolled: 1-line block ×3, first 2 shown]
	v_mul_u32_u24_e32 v1, 0x493, v0
	v_mov_b32_e32 v64, 0
	v_mov_b32_e32 v65, 0
	s_delay_alu instid0(VALU_DEP_3) | instskip(SKIP_1) | instid1(VALU_DEP_1)
	v_lshrrev_b32_e32 v2, 16, v1
	v_mov_b32_e32 v1, 0
	v_dual_mov_b32 v4, v1 :: v_dual_add_nc_u32 v3, ttmp9, v2
	s_wait_kmcnt 0x0
	v_cmp_lt_u64_e64 s2, s[10:11], 2
	s_delay_alu instid0(VALU_DEP_1)
	s_and_b32 vcc_lo, exec_lo, s2
	s_cbranch_vccnz .LBB0_8
; %bb.1:
	s_load_b64 s[2:3], s[0:1], 0x10
	v_mov_b32_e32 v64, 0
	v_mov_b32_e32 v65, 0
	s_delay_alu instid0(VALU_DEP_2)
	v_mov_b32_e32 v16, v64
	s_add_nc_u64 s[16:17], s[14:15], 8
	s_add_nc_u64 s[18:19], s[12:13], 8
	s_mov_b64 s[20:21], 1
	v_mov_b32_e32 v17, v65
	s_wait_kmcnt 0x0
	s_add_nc_u64 s[22:23], s[2:3], 8
	s_mov_b32 s3, 0
.LBB0_2:                                ; =>This Inner Loop Header: Depth=1
	s_load_b64 s[24:25], s[22:23], 0x0
                                        ; implicit-def: $vgpr12_vgpr13
	s_mov_b32 s2, exec_lo
	s_wait_kmcnt 0x0
	v_or_b32_e32 v2, s25, v4
	s_delay_alu instid0(VALU_DEP_1)
	v_cmpx_ne_u64_e32 0, v[1:2]
	s_wait_alu 0xfffe
	s_xor_b32 s26, exec_lo, s2
	s_cbranch_execz .LBB0_4
; %bb.3:                                ;   in Loop: Header=BB0_2 Depth=1
	s_cvt_f32_u32 s2, s24
	s_cvt_f32_u32 s27, s25
	s_sub_nc_u64 s[30:31], 0, s[24:25]
	s_wait_alu 0xfffe
	s_delay_alu instid0(SALU_CYCLE_1) | instskip(SKIP_1) | instid1(SALU_CYCLE_2)
	s_fmamk_f32 s2, s27, 0x4f800000, s2
	s_wait_alu 0xfffe
	v_s_rcp_f32 s2, s2
	s_delay_alu instid0(TRANS32_DEP_1) | instskip(SKIP_1) | instid1(SALU_CYCLE_2)
	s_mul_f32 s2, s2, 0x5f7ffffc
	s_wait_alu 0xfffe
	s_mul_f32 s27, s2, 0x2f800000
	s_wait_alu 0xfffe
	s_delay_alu instid0(SALU_CYCLE_2) | instskip(SKIP_1) | instid1(SALU_CYCLE_2)
	s_trunc_f32 s27, s27
	s_wait_alu 0xfffe
	s_fmamk_f32 s2, s27, 0xcf800000, s2
	s_cvt_u32_f32 s29, s27
	s_wait_alu 0xfffe
	s_delay_alu instid0(SALU_CYCLE_1) | instskip(SKIP_1) | instid1(SALU_CYCLE_2)
	s_cvt_u32_f32 s28, s2
	s_wait_alu 0xfffe
	s_mul_u64 s[34:35], s[30:31], s[28:29]
	s_wait_alu 0xfffe
	s_mul_hi_u32 s37, s28, s35
	s_mul_i32 s36, s28, s35
	s_mul_hi_u32 s2, s28, s34
	s_mul_i32 s33, s29, s34
	s_wait_alu 0xfffe
	s_add_nc_u64 s[36:37], s[2:3], s[36:37]
	s_mul_hi_u32 s27, s29, s34
	s_mul_hi_u32 s38, s29, s35
	s_add_co_u32 s2, s36, s33
	s_wait_alu 0xfffe
	s_add_co_ci_u32 s2, s37, s27
	s_mul_i32 s34, s29, s35
	s_add_co_ci_u32 s35, s38, 0
	s_wait_alu 0xfffe
	s_add_nc_u64 s[34:35], s[2:3], s[34:35]
	s_wait_alu 0xfffe
	v_add_co_u32 v2, s2, s28, s34
	s_delay_alu instid0(VALU_DEP_1) | instskip(SKIP_1) | instid1(VALU_DEP_1)
	s_cmp_lg_u32 s2, 0
	s_add_co_ci_u32 s29, s29, s35
	v_readfirstlane_b32 s28, v2
	s_wait_alu 0xfffe
	s_delay_alu instid0(VALU_DEP_1)
	s_mul_u64 s[30:31], s[30:31], s[28:29]
	s_wait_alu 0xfffe
	s_mul_hi_u32 s35, s28, s31
	s_mul_i32 s34, s28, s31
	s_mul_hi_u32 s2, s28, s30
	s_mul_i32 s33, s29, s30
	s_wait_alu 0xfffe
	s_add_nc_u64 s[34:35], s[2:3], s[34:35]
	s_mul_hi_u32 s27, s29, s30
	s_mul_hi_u32 s28, s29, s31
	s_wait_alu 0xfffe
	s_add_co_u32 s2, s34, s33
	s_add_co_ci_u32 s2, s35, s27
	s_mul_i32 s30, s29, s31
	s_add_co_ci_u32 s31, s28, 0
	s_wait_alu 0xfffe
	s_add_nc_u64 s[30:31], s[2:3], s[30:31]
	s_wait_alu 0xfffe
	v_add_co_u32 v2, s2, v2, s30
	s_delay_alu instid0(VALU_DEP_1) | instskip(SKIP_1) | instid1(VALU_DEP_1)
	s_cmp_lg_u32 s2, 0
	s_add_co_ci_u32 s2, s29, s31
	v_mul_hi_u32 v11, v3, v2
	s_wait_alu 0xfffe
	v_mad_co_u64_u32 v[5:6], null, v3, s2, 0
	v_mad_co_u64_u32 v[7:8], null, v4, v2, 0
	;; [unrolled: 1-line block ×3, first 2 shown]
	s_delay_alu instid0(VALU_DEP_3) | instskip(SKIP_1) | instid1(VALU_DEP_4)
	v_add_co_u32 v2, vcc_lo, v11, v5
	s_wait_alu 0xfffd
	v_add_co_ci_u32_e32 v5, vcc_lo, 0, v6, vcc_lo
	s_delay_alu instid0(VALU_DEP_2) | instskip(SKIP_1) | instid1(VALU_DEP_2)
	v_add_co_u32 v2, vcc_lo, v2, v7
	s_wait_alu 0xfffd
	v_add_co_ci_u32_e32 v2, vcc_lo, v5, v8, vcc_lo
	s_wait_alu 0xfffd
	v_add_co_ci_u32_e32 v5, vcc_lo, 0, v10, vcc_lo
	s_delay_alu instid0(VALU_DEP_2) | instskip(SKIP_1) | instid1(VALU_DEP_2)
	v_add_co_u32 v2, vcc_lo, v2, v9
	s_wait_alu 0xfffd
	v_add_co_ci_u32_e32 v7, vcc_lo, 0, v5, vcc_lo
	s_delay_alu instid0(VALU_DEP_2) | instskip(SKIP_1) | instid1(VALU_DEP_3)
	v_mul_lo_u32 v8, s25, v2
	v_mad_co_u64_u32 v[5:6], null, s24, v2, 0
	v_mul_lo_u32 v9, s24, v7
	s_delay_alu instid0(VALU_DEP_2) | instskip(NEXT) | instid1(VALU_DEP_2)
	v_sub_co_u32 v5, vcc_lo, v3, v5
	v_add3_u32 v6, v6, v9, v8
	s_delay_alu instid0(VALU_DEP_1) | instskip(SKIP_1) | instid1(VALU_DEP_1)
	v_sub_nc_u32_e32 v8, v4, v6
	s_wait_alu 0xfffd
	v_subrev_co_ci_u32_e64 v8, s2, s25, v8, vcc_lo
	v_add_co_u32 v9, s2, v2, 2
	s_wait_alu 0xf1ff
	v_add_co_ci_u32_e64 v10, s2, 0, v7, s2
	v_sub_co_u32 v11, s2, v5, s24
	v_sub_co_ci_u32_e32 v6, vcc_lo, v4, v6, vcc_lo
	s_wait_alu 0xf1ff
	v_subrev_co_ci_u32_e64 v8, s2, 0, v8, s2
	s_delay_alu instid0(VALU_DEP_3) | instskip(NEXT) | instid1(VALU_DEP_3)
	v_cmp_le_u32_e32 vcc_lo, s24, v11
	v_cmp_eq_u32_e64 s2, s25, v6
	s_wait_alu 0xfffd
	v_cndmask_b32_e64 v11, 0, -1, vcc_lo
	v_cmp_le_u32_e32 vcc_lo, s25, v8
	s_wait_alu 0xfffd
	v_cndmask_b32_e64 v12, 0, -1, vcc_lo
	v_cmp_le_u32_e32 vcc_lo, s24, v5
	;; [unrolled: 3-line block ×3, first 2 shown]
	s_wait_alu 0xfffd
	v_cndmask_b32_e64 v13, 0, -1, vcc_lo
	v_cmp_eq_u32_e32 vcc_lo, s25, v8
	s_wait_alu 0xf1ff
	s_delay_alu instid0(VALU_DEP_2)
	v_cndmask_b32_e64 v5, v13, v5, s2
	s_wait_alu 0xfffd
	v_cndmask_b32_e32 v8, v12, v11, vcc_lo
	v_add_co_u32 v11, vcc_lo, v2, 1
	s_wait_alu 0xfffd
	v_add_co_ci_u32_e32 v12, vcc_lo, 0, v7, vcc_lo
	s_delay_alu instid0(VALU_DEP_3) | instskip(SKIP_1) | instid1(VALU_DEP_2)
	v_cmp_ne_u32_e32 vcc_lo, 0, v8
	s_wait_alu 0xfffd
	v_cndmask_b32_e32 v6, v12, v10, vcc_lo
	v_cndmask_b32_e32 v8, v11, v9, vcc_lo
	v_cmp_ne_u32_e32 vcc_lo, 0, v5
	s_wait_alu 0xfffd
	s_delay_alu instid0(VALU_DEP_2)
	v_dual_cndmask_b32 v13, v7, v6 :: v_dual_cndmask_b32 v12, v2, v8
.LBB0_4:                                ;   in Loop: Header=BB0_2 Depth=1
	s_wait_alu 0xfffe
	s_and_not1_saveexec_b32 s2, s26
	s_cbranch_execz .LBB0_6
; %bb.5:                                ;   in Loop: Header=BB0_2 Depth=1
	v_cvt_f32_u32_e32 v2, s24
	s_sub_co_i32 s26, 0, s24
	v_mov_b32_e32 v13, v1
	s_delay_alu instid0(VALU_DEP_2) | instskip(NEXT) | instid1(TRANS32_DEP_1)
	v_rcp_iflag_f32_e32 v2, v2
	v_mul_f32_e32 v2, 0x4f7ffffe, v2
	s_delay_alu instid0(VALU_DEP_1) | instskip(SKIP_1) | instid1(VALU_DEP_1)
	v_cvt_u32_f32_e32 v2, v2
	s_wait_alu 0xfffe
	v_mul_lo_u32 v5, s26, v2
	s_delay_alu instid0(VALU_DEP_1) | instskip(NEXT) | instid1(VALU_DEP_1)
	v_mul_hi_u32 v5, v2, v5
	v_add_nc_u32_e32 v2, v2, v5
	s_delay_alu instid0(VALU_DEP_1) | instskip(NEXT) | instid1(VALU_DEP_1)
	v_mul_hi_u32 v2, v3, v2
	v_mul_lo_u32 v5, v2, s24
	v_add_nc_u32_e32 v6, 1, v2
	s_delay_alu instid0(VALU_DEP_2) | instskip(NEXT) | instid1(VALU_DEP_1)
	v_sub_nc_u32_e32 v5, v3, v5
	v_subrev_nc_u32_e32 v7, s24, v5
	v_cmp_le_u32_e32 vcc_lo, s24, v5
	s_wait_alu 0xfffd
	s_delay_alu instid0(VALU_DEP_2) | instskip(NEXT) | instid1(VALU_DEP_1)
	v_dual_cndmask_b32 v5, v5, v7 :: v_dual_cndmask_b32 v2, v2, v6
	v_cmp_le_u32_e32 vcc_lo, s24, v5
	s_delay_alu instid0(VALU_DEP_2) | instskip(SKIP_1) | instid1(VALU_DEP_1)
	v_add_nc_u32_e32 v6, 1, v2
	s_wait_alu 0xfffd
	v_cndmask_b32_e32 v12, v2, v6, vcc_lo
.LBB0_6:                                ;   in Loop: Header=BB0_2 Depth=1
	s_wait_alu 0xfffe
	s_or_b32 exec_lo, exec_lo, s2
	v_mul_lo_u32 v2, v13, s24
	s_delay_alu instid0(VALU_DEP_2)
	v_mul_lo_u32 v7, v12, s25
	s_load_b64 s[26:27], s[18:19], 0x0
	v_mad_co_u64_u32 v[5:6], null, v12, s24, 0
	s_load_b64 s[24:25], s[16:17], 0x0
	s_add_nc_u64 s[20:21], s[20:21], 1
	s_add_nc_u64 s[16:17], s[16:17], 8
	s_wait_alu 0xfffe
	v_cmp_ge_u64_e64 s2, s[20:21], s[10:11]
	s_add_nc_u64 s[18:19], s[18:19], 8
	s_add_nc_u64 s[22:23], s[22:23], 8
	v_add3_u32 v2, v6, v7, v2
	v_sub_co_u32 v3, vcc_lo, v3, v5
	s_wait_alu 0xfffd
	s_delay_alu instid0(VALU_DEP_2) | instskip(SKIP_2) | instid1(VALU_DEP_1)
	v_sub_co_ci_u32_e32 v2, vcc_lo, v4, v2, vcc_lo
	s_and_b32 vcc_lo, exec_lo, s2
	s_wait_kmcnt 0x0
	v_mul_lo_u32 v4, s26, v2
	v_mul_lo_u32 v5, s27, v3
	v_mad_co_u64_u32 v[64:65], null, s26, v3, v[64:65]
	v_mul_lo_u32 v2, s24, v2
	v_mul_lo_u32 v6, s25, v3
	v_mad_co_u64_u32 v[16:17], null, s24, v3, v[16:17]
	s_delay_alu instid0(VALU_DEP_4) | instskip(NEXT) | instid1(VALU_DEP_2)
	v_add3_u32 v65, v5, v65, v4
	v_add3_u32 v17, v6, v17, v2
	s_wait_alu 0xfffe
	s_cbranch_vccnz .LBB0_9
; %bb.7:                                ;   in Loop: Header=BB0_2 Depth=1
	v_dual_mov_b32 v3, v12 :: v_dual_mov_b32 v4, v13
	s_branch .LBB0_2
.LBB0_8:
	v_dual_mov_b32 v16, v64 :: v_dual_mov_b32 v17, v65
	v_dual_mov_b32 v13, v4 :: v_dual_mov_b32 v12, v3
.LBB0_9:
	s_load_b64 s[0:1], s[0:1], 0x28
	v_mul_hi_u32 v5, 0x4924925, v0
	s_lshl_b64 s[10:11], s[10:11], 3
                                        ; implicit-def: $vgpr108
                                        ; implicit-def: $vgpr88
	s_wait_alu 0xfffe
	s_add_nc_u64 s[2:3], s[14:15], s[10:11]
                                        ; implicit-def: $sgpr14
	s_wait_kmcnt 0x0
	v_cmp_gt_u64_e32 vcc_lo, s[0:1], v[12:13]
	v_cmp_le_u64_e64 s0, s[0:1], v[12:13]
	s_delay_alu instid0(VALU_DEP_1)
	s_and_saveexec_b32 s1, s0
	s_wait_alu 0xfffe
	s_xor_b32 s0, exec_lo, s1
; %bb.10:
	v_mul_u32_u24_e32 v1, 56, v5
	s_mov_b32 s14, 0
                                        ; implicit-def: $vgpr5
                                        ; implicit-def: $vgpr64_vgpr65
	s_delay_alu instid0(VALU_DEP_1) | instskip(NEXT) | instid1(VALU_DEP_1)
	v_sub_nc_u32_e32 v108, v0, v1
                                        ; implicit-def: $vgpr0
	v_or_b32_e32 v88, 0x1c0, v108
; %bb.11:
	s_wait_alu 0xfffe
	s_or_saveexec_b32 s1, s0
	s_load_b64 s[2:3], s[2:3], 0x0
	v_dual_mov_b32 v2, s14 :: v_dual_mov_b32 v1, s14
	v_dual_mov_b32 v4, s14 :: v_dual_mov_b32 v3, s14
                                        ; implicit-def: $vgpr25
                                        ; implicit-def: $vgpr45
                                        ; implicit-def: $vgpr59
                                        ; implicit-def: $vgpr33
                                        ; implicit-def: $vgpr49
                                        ; implicit-def: $vgpr57
                                        ; implicit-def: $vgpr76
                                        ; implicit-def: $vgpr21
                                        ; implicit-def: $vgpr43
                                        ; implicit-def: $vgpr53
                                        ; implicit-def: $vgpr74
                                        ; implicit-def: $vgpr27
                                        ; implicit-def: $vgpr31
                                        ; implicit-def: $vgpr47
                                        ; implicit-def: $vgpr70
                                        ; implicit-def: $vgpr35
                                        ; implicit-def: $vgpr51
                                        ; implicit-def: $vgpr61
                                        ; implicit-def: $vgpr29
                                        ; implicit-def: $vgpr39
                                        ; implicit-def: $vgpr55
                                        ; implicit-def: $vgpr68
                                        ; implicit-def: $vgpr8
                                        ; implicit-def: $vgpr19
                                        ; implicit-def: $vgpr41
                                        ; implicit-def: $vgpr10
                                        ; implicit-def: $vgpr23
                                        ; implicit-def: $vgpr37
                                        ; implicit-def: $vgpr6
                                        ; implicit-def: $vgpr15
                                        ; implicit-def: $vgpr63
                                        ; implicit-def: $vgpr66
                                        ; implicit-def: $vgpr72
                                        ; implicit-def: $vgpr78
	s_xor_b32 exec_lo, exec_lo, s1
	s_cbranch_execz .LBB0_15
; %bb.12:
	s_add_nc_u64 s[10:11], s[12:13], s[10:11]
	v_mul_u32_u24_e32 v5, 56, v5
	s_load_b64 s[10:11], s[10:11], 0x0
                                        ; implicit-def: $vgpr14
	s_delay_alu instid0(VALU_DEP_1) | instskip(NEXT) | instid1(VALU_DEP_1)
	v_sub_nc_u32_e32 v108, v0, v5
                                        ; implicit-def: $vgpr5
	v_or_b32_e32 v88, 0x1c0, v108
	s_wait_kmcnt 0x0
	v_mul_lo_u32 v3, s11, v12
	v_mul_lo_u32 v4, s10, v13
	v_mad_co_u64_u32 v[1:2], null, s10, v12, 0
	s_delay_alu instid0(VALU_DEP_1) | instskip(SKIP_1) | instid1(VALU_DEP_2)
	v_add3_u32 v2, v2, v4, v3
	v_lshlrev_b64_e32 v[3:4], 3, v[64:65]
	v_lshlrev_b64_e32 v[1:2], 3, v[1:2]
	s_delay_alu instid0(VALU_DEP_1) | instskip(SKIP_1) | instid1(VALU_DEP_2)
	v_add_co_u32 v0, s0, s4, v1
	s_wait_alu 0xf1ff
	v_add_co_ci_u32_e64 v1, s0, s5, v2, s0
	v_lshlrev_b32_e32 v2, 3, v108
	s_delay_alu instid0(VALU_DEP_3) | instskip(SKIP_3) | instid1(VALU_DEP_3)
	v_add_co_u32 v0, s0, v0, v3
	v_mov_b32_e32 v3, 0
	s_wait_alu 0xf1ff
	v_add_co_ci_u32_e64 v1, s0, v1, v4, s0
	v_add_co_u32 v79, s0, v0, v2
	v_mov_b32_e32 v4, 0
	s_wait_alu 0xf1ff
	s_delay_alu instid0(VALU_DEP_3)
	v_add_co_ci_u32_e64 v80, s0, 0, v1, s0
	v_mov_b32_e32 v1, 0
	s_clause 0x1f
	global_load_b64 v[24:25], v[79:80], off
	global_load_b64 v[32:33], v[79:80], off offset:448
	global_load_b64 v[20:21], v[79:80], off offset:896
	;; [unrolled: 1-line block ×31, first 2 shown]
	v_mov_b32_e32 v2, 0
	s_mov_b32 s4, exec_lo
	v_cmpx_gt_u32_e32 0x1ea, v88
; %bb.13:
	s_clause 0x3
	global_load_b64 v[1:2], v[79:80], off offset:3584
	global_load_b64 v[3:4], v[79:80], off offset:7504
	;; [unrolled: 1-line block ×4, first 2 shown]
; %bb.14:
	s_wait_alu 0xfffe
	s_or_b32 exec_lo, exec_lo, s4
.LBB0_15:
	s_delay_alu instid0(SALU_CYCLE_1)
	s_or_b32 exec_lo, exec_lo, s1
	s_wait_loadcnt 0x16
	v_sub_f32_e32 v11, v32, v56
	s_wait_loadcnt 0x12
	v_dual_sub_f32 v56, v48, v75 :: v_dual_add_nc_u32 v111, 0x70, v108
	v_sub_f32_e32 v52, v20, v52
	s_wait_loadcnt 0x5
	v_sub_f32_e32 v40, v7, v40
	v_fma_f32 v81, v32, 2.0, -v11
	v_fma_f32 v32, v48, 2.0, -v56
	v_sub_f32_e32 v0, v24, v58
	v_sub_f32_e32 v58, v44, v77
	;; [unrolled: 1-line block ×3, first 2 shown]
	v_fma_f32 v20, v20, 2.0, -v52
	v_sub_f32_e32 v77, v81, v32
	v_fma_f32 v24, v24, 2.0, -v0
	v_fma_f32 v64, v44, 2.0, -v58
	v_sub_f32_e32 v44, v45, v78
	v_sub_f32_e32 v32, v42, v73
	;; [unrolled: 1-line block ×6, first 2 shown]
	v_add_nc_u32_e32 v113, 0xe0, v108
	v_add_nc_u32_e32 v110, 56, v108
	v_fma_f32 v28, v28, 2.0, -v54
	v_fma_f32 v79, v24, 2.0, -v75
	;; [unrolled: 1-line block ×4, first 2 shown]
	v_sub_f32_e32 v24, v26, v46
	v_sub_f32_e32 v42, v30, v69
	v_dual_sub_f32 v46, v43, v74 :: v_dual_add_nc_u32 v89, 0x188, v108
	s_delay_alu instid0(VALU_DEP_4) | instskip(NEXT) | instid1(VALU_DEP_4)
	v_sub_f32_e32 v69, v20, v0
	v_fma_f32 v26, v26, 2.0, -v24
	s_delay_alu instid0(VALU_DEP_4) | instskip(SKIP_3) | instid1(VALU_DEP_4)
	v_fma_f32 v64, v30, 2.0, -v42
	v_dual_sub_f32 v30, v31, v70 :: v_dual_add_nc_u32 v115, 0x150, v108
	v_sub_f32_e32 v70, v52, v46
	v_add_nc_u32_e32 v112, 0xa8, v108
	v_sub_f32_e32 v73, v26, v64
	v_fma_f32 v64, v34, 2.0, -v60
	v_sub_f32_e32 v74, v24, v30
	v_fma_f32 v84, v52, 2.0, -v70
	s_wait_loadcnt 0x3
	v_sub_f32_e32 v52, v50, v71
	v_fma_f32 v85, v26, 2.0, -v73
	s_wait_loadcnt 0x2
	v_sub_f32_e32 v26, v38, v67
	v_fma_f32 v83, v20, 2.0, -v69
	v_fma_f32 v86, v24, 2.0, -v74
	;; [unrolled: 1-line block ×3, first 2 shown]
	v_lshl_add_u32 v24, v111, 4, 0
	v_fma_f32 v38, v38, 2.0, -v26
	v_sub_f32_e32 v34, v39, v68
	v_fma_f32 v81, v81, 2.0, -v77
	v_dual_sub_f32 v67, v64, v67 :: v_dual_sub_f32 v78, v11, v48
	v_lshl_add_u32 v0, v110, 4, 0
	v_lshl_add_u32 v20, v112, 4, 0
	v_sub_f32_e32 v50, v51, v72
	s_wait_loadcnt 0x0
	v_sub_f32_e32 v62, v22, v62
	v_fma_f32 v82, v11, 2.0, -v78
	v_lshl_add_u32 v11, v108, 4, 0
	ds_store_2addr_b64 v11, v[79:80], v[75:76] offset1:1
	ds_store_2addr_b64 v0, v[81:82], v[77:78] offset1:1
	;; [unrolled: 1-line block ×4, first 2 shown]
	v_sub_f32_e32 v69, v28, v38
	v_sub_f32_e32 v70, v54, v34
	v_sub_f32_e32 v68, v60, v50
	v_sub_f32_e32 v38, v23, v63
	v_fma_f32 v71, v64, 2.0, -v67
	v_fma_f32 v73, v28, 2.0, -v69
	;; [unrolled: 1-line block ×3, first 2 shown]
	v_sub_f32_e32 v28, v18, v65
	v_sub_f32_e32 v54, v9, v36
	;; [unrolled: 1-line block ×3, first 2 shown]
	v_fma_f32 v72, v60, 2.0, -v68
	v_fma_f32 v60, v7, 2.0, -v40
	;; [unrolled: 1-line block ×4, first 2 shown]
	v_sub_f32_e32 v65, v40, v36
	v_fma_f32 v9, v22, 2.0, -v62
	v_add_nc_u32_e32 v114, 0x118, v108
	v_sub_f32_e32 v64, v60, v18
	v_sub_f32_e32 v18, v4, v15
	v_fma_f32 v78, v40, 2.0, -v65
	v_sub_f32_e32 v40, v1, v5
	v_sub_f32_e32 v75, v66, v9
	;; [unrolled: 1-line block ×3, first 2 shown]
	v_lshl_add_u32 v7, v113, 4, 0
	v_lshl_add_u32 v9, v114, 4, 0
	v_fma_f32 v77, v60, 2.0, -v64
	v_lshl_add_u32 v60, v115, 4, 0
	v_lshl_add_u32 v22, v89, 4, 0
	v_sub_f32_e32 v63, v3, v14
	v_sub_f32_e32 v15, v40, v18
	v_cmp_gt_u32_e64 s0, 42, v108
	v_lshl_add_u32 v5, v88, 4, 0
	v_fma_f32 v79, v66, 2.0, -v75
	v_fma_f32 v80, v54, 2.0, -v76
	ds_store_2addr_b64 v7, v[71:72], v[67:68] offset1:1
	ds_store_2addr_b64 v9, v[73:74], v[69:70] offset1:1
	;; [unrolled: 1-line block ×4, first 2 shown]
	s_and_saveexec_b32 s1, s0
	s_cbranch_execz .LBB0_17
; %bb.16:
	v_fma_f32 v1, v1, 2.0, -v40
	v_fma_f32 v3, v3, 2.0, -v63
	;; [unrolled: 1-line block ×3, first 2 shown]
	s_delay_alu instid0(VALU_DEP_2) | instskip(NEXT) | instid1(VALU_DEP_1)
	v_sub_f32_e32 v14, v1, v3
	v_fma_f32 v64, v1, 2.0, -v14
	ds_store_2addr_b64 v5, v[64:65], v[14:15] offset1:1
.LBB0_17:
	s_wait_alu 0xfffe
	s_or_b32 exec_lo, exec_lo, s1
	v_sub_f32_e32 v3, v33, v57
	v_fma_f32 v14, v45, 2.0, -v44
	v_sub_f32_e32 v44, v21, v53
	v_fma_f32 v43, v43, 2.0, -v46
	v_lshl_add_u32 v109, v108, 2, 0
	v_fma_f32 v40, v49, 2.0, -v48
	global_wb scope:SCOPE_SE
	s_wait_dscnt 0x0
	v_fma_f32 v21, v21, 2.0, -v44
	s_wait_kmcnt 0x0
	s_barrier_signal -1
	v_add_nc_u32_e32 v90, 0xc00, v109
	v_add_nc_u32_e32 v95, 0x1000, v109
	v_add_nc_u32_e32 v64, 0x1200, v109
	v_dual_sub_f32 v74, v21, v43 :: v_dual_add_nc_u32 v93, 0x1400, v109
	v_add_nc_u32_e32 v65, 0x1c00, v109
	v_add_nc_u32_e32 v91, 0x1800, v109
	;; [unrolled: 1-line block ×3, first 2 shown]
	s_delay_alu instid0(VALU_DEP_4)
	v_fma_f32 v76, v21, 2.0, -v74
	v_fma_f32 v21, v51, 2.0, -v50
	v_dual_sub_f32 v1, v25, v59 :: v_dual_add_nc_u32 v92, 0x200, v109
	s_barrier_wait -1
	global_inv scope:SCOPE_SE
	v_fma_f32 v25, v25, 2.0, -v1
	v_add_f32_e32 v67, v1, v58
	s_delay_alu instid0(VALU_DEP_2) | instskip(SKIP_1) | instid1(VALU_DEP_3)
	v_sub_f32_e32 v66, v25, v14
	v_sub_f32_e32 v14, v27, v47
	v_fma_f32 v71, v1, 2.0, -v67
	v_add_f32_e32 v69, v3, v56
	v_fma_f32 v33, v33, 2.0, -v3
	v_add_f32_e32 v75, v44, v32
	v_fma_f32 v1, v27, 2.0, -v14
	v_sub_f32_e32 v27, v35, v61
	v_fma_f32 v73, v3, 2.0, -v69
	v_dual_sub_f32 v68, v33, v40 :: v_dual_add_f32 v79, v14, v42
	v_fma_f32 v70, v25, 2.0, -v66
	s_delay_alu instid0(VALU_DEP_4)
	v_fma_f32 v3, v35, 2.0, -v27
	v_fma_f32 v25, v31, 2.0, -v30
	v_add_f32_e32 v83, v27, v52
	v_fma_f32 v81, v14, 2.0, -v79
	v_fma_f32 v14, v19, 2.0, -v36
	v_sub_f32_e32 v82, v3, v21
	v_sub_f32_e32 v78, v1, v25
	v_fma_f32 v21, v39, 2.0, -v34
	v_fma_f32 v72, v33, 2.0, -v68
	;; [unrolled: 1-line block ×4, first 2 shown]
	v_sub_f32_e32 v3, v8, v41
	v_fma_f32 v80, v1, 2.0, -v78
	v_fma_f32 v85, v27, 2.0, -v83
	s_delay_alu instid0(VALU_DEP_3) | instskip(NEXT) | instid1(VALU_DEP_1)
	v_fma_f32 v8, v8, 2.0, -v3
	v_dual_sub_f32 v25, v29, v55 :: v_dual_sub_f32 v100, v8, v14
	s_delay_alu instid0(VALU_DEP_1) | instskip(SKIP_1) | instid1(VALU_DEP_3)
	v_fma_f32 v1, v29, 2.0, -v25
	v_dual_add_f32 v87, v25, v26 :: v_dual_add_nc_u32 v14, 0x800, v109
	v_fma_f32 v102, v8, 2.0, -v100
	s_delay_alu instid0(VALU_DEP_3) | instskip(SKIP_1) | instid1(VALU_DEP_4)
	v_sub_f32_e32 v86, v1, v21
	v_sub_f32_e32 v21, v10, v37
	v_fma_f32 v99, v25, 2.0, -v87
	s_delay_alu instid0(VALU_DEP_2)
	v_fma_f32 v10, v10, 2.0, -v21
	v_dual_add_f32 v62, v21, v62 :: v_dual_add_f32 v101, v3, v28
	v_fma_f32 v98, v1, 2.0, -v86
	v_fma_f32 v1, v23, 2.0, -v38
	ds_load_2addr_b32 v[28:29], v109 offset1:56
	ds_load_2addr_b32 v[26:27], v92 offset0:96 offset1:152
	ds_load_2addr_b32 v[52:53], v14 offset0:48 offset1:104
	v_fma_f32 v105, v21, 2.0, -v62
	v_fma_f32 v103, v3, 2.0, -v101
	v_sub_f32_e32 v61, v10, v1
	v_dual_sub_f32 v1, v2, v6 :: v_dual_add_nc_u32 v94, 0x400, v109
	s_delay_alu instid0(VALU_DEP_2) | instskip(NEXT) | instid1(VALU_DEP_2)
	v_fma_f32 v104, v10, 2.0, -v61
	v_add_f32_e32 v19, v1, v63
	ds_load_2addr_b32 v[50:51], v90 offset0:16 offset1:72
	ds_load_2addr_b32 v[46:47], v95 offset0:96 offset1:152
	ds_load_2addr_b32 v[32:33], v93 offset0:64 offset1:120
	ds_load_2addr_b32 v[44:45], v91 offset0:144 offset1:200
	ds_load_2addr_b32 v[54:55], v94 offset0:80 offset1:136
	ds_load_2addr_b32 v[40:41], v90 offset0:128 offset1:184
	ds_load_2addr_b32 v[38:39], v93 offset0:176 offset1:232
	ds_load_2addr_b32 v[30:31], v109 offset0:112 offset1:168
	ds_load_2addr_b32 v[58:59], v14 offset0:160 offset1:216
	ds_load_2addr_b32 v[48:49], v64 offset0:80 offset1:136
	ds_load_2addr_b32 v[42:43], v65 offset1:56
	ds_load_2addr_b32 v[56:57], v94 offset0:192 offset1:248
	ds_load_2addr_b32 v[36:37], v96 offset0:112 offset1:168
	;; [unrolled: 1-line block ×3, first 2 shown]
	ds_load_b32 v97, v109 offset:7616
	global_wb scope:SCOPE_SE
	s_wait_dscnt 0x0
	s_barrier_signal -1
	s_barrier_wait -1
	global_inv scope:SCOPE_SE
	ds_store_2addr_b64 v11, v[70:71], v[66:67] offset1:1
	ds_store_2addr_b64 v0, v[72:73], v[68:69] offset1:1
	;; [unrolled: 1-line block ×8, first 2 shown]
	s_and_saveexec_b32 s1, s0
	s_cbranch_execz .LBB0_19
; %bb.18:
	v_fma_f32 v0, v2, 2.0, -v1
	v_fma_f32 v2, v4, 2.0, -v18
	;; [unrolled: 1-line block ×3, first 2 shown]
	s_delay_alu instid0(VALU_DEP_2) | instskip(NEXT) | instid1(VALU_DEP_1)
	v_sub_f32_e32 v18, v0, v2
	v_fma_f32 v0, v0, 2.0, -v18
	ds_store_2addr_b64 v5, v[0:1], v[18:19] offset1:1
.LBB0_19:
	s_wait_alu 0xfffe
	s_or_b32 exec_lo, exec_lo, s1
	v_and_b32_e32 v98, 3, v108
	global_wb scope:SCOPE_SE
	s_wait_dscnt 0x0
	s_barrier_signal -1
	s_barrier_wait -1
	global_inv scope:SCOPE_SE
	v_mul_u32_u24_e32 v0, 6, v98
	v_lshrrev_b32_e32 v99, 2, v108
	v_lshrrev_b32_e32 v100, 2, v110
	;; [unrolled: 1-line block ×4, first 2 shown]
	v_lshlrev_b32_e32 v0, 3, v0
	v_lshrrev_b32_e32 v103, 2, v113
	v_mul_u32_u24_e32 v99, 28, v99
	v_mul_u32_u24_e32 v100, 28, v100
	;; [unrolled: 1-line block ×3, first 2 shown]
	s_clause 0x2
	global_load_b128 v[8:11], v0, s[8:9]
	global_load_b128 v[4:7], v0, s[8:9] offset:16
	global_load_b128 v[0:3], v0, s[8:9] offset:32
	ds_load_2addr_b32 v[24:25], v109 offset1:56
	ds_load_2addr_b32 v[20:21], v92 offset0:96 offset1:152
	ds_load_2addr_b32 v[82:83], v14 offset0:48 offset1:104
	;; [unrolled: 1-line block ×12, first 2 shown]
	ds_load_2addr_b32 v[66:67], v65 offset1:56
	ds_load_2addr_b32 v[80:81], v94 offset0:192 offset1:248
	ds_load_2addr_b32 v[64:65], v96 offset0:112 offset1:168
	;; [unrolled: 1-line block ×3, first 2 shown]
	ds_load_b32 v18, v109 offset:7616
	v_mul_u32_u24_e32 v102, 28, v102
	v_mul_u32_u24_e32 v103, 28, v103
	global_wb scope:SCOPE_SE
	s_wait_loadcnt_dscnt 0x0
	s_barrier_signal -1
	s_barrier_wait -1
	global_inv scope:SCOPE_SE
	v_cmp_gt_u32_e64 s0, 28, v108
	v_dual_mul_f32 v139, v52, v11 :: v_dual_mul_f32 v116, v21, v9
	v_mul_f32_e32 v141, v83, v11
	v_dual_mul_f32 v138, v27, v9 :: v_dual_mul_f32 v143, v44, v3
	v_mul_f32_e32 v117, v82, v11
	v_or_b32_e32 v99, v99, v98
	v_or_b32_e32 v100, v100, v98
	;; [unrolled: 1-line block ×5, first 2 shown]
	v_dual_mul_f32 v145, v79, v5 :: v_dual_mul_f32 v146, v76, v7
	v_dual_mul_f32 v137, v51, v5 :: v_dual_mul_f32 v140, v46, v7
	;; [unrolled: 1-line block ×8, first 2 shown]
	v_mul_f32_e32 v153, v80, v9
	v_dual_mul_f32 v154, v81, v9 :: v_dual_mul_f32 v155, v78, v11
	v_mul_f32_e32 v120, v56, v9
	v_dual_mul_f32 v103, v57, v9 :: v_dual_mul_f32 v134, v47, v7
	v_dual_mul_f32 v9, v72, v5 :: v_dual_mul_f32 v136, v45, v3
	;; [unrolled: 1-line block ×8, first 2 shown]
	v_lshl_add_u32 v98, v99, 2, 0
	v_lshl_add_u32 v101, v100, 2, 0
	;; [unrolled: 1-line block ×4, first 2 shown]
	v_mul_f32_e32 v104, v50, v11
	v_mul_f32_e32 v11, v77, v7
	v_dual_mul_f32 v158, v73, v5 :: v_dual_mul_f32 v159, v68, v7
	v_dual_mul_f32 v162, v64, v5 :: v_dual_mul_f32 v163, v69, v7
	;; [unrolled: 1-line block ×5, first 2 shown]
	v_mul_f32_e32 v166, v65, v5
	v_dual_mul_f32 v105, v37, v5 :: v_dual_fmac_f32 v132, v84, v8
	v_mul_f32_e32 v5, v60, v7
	v_dual_mul_f32 v7, v63, v1 :: v_dual_fmac_f32 v126, v86, v10
	v_dual_mul_f32 v107, v35, v1 :: v_dual_fmac_f32 v120, v80, v8
	;; [unrolled: 1-line block ×3, first 2 shown]
	v_fma_f32 v144, v52, v10, -v117
	v_fma_f32 v141, v53, v10, -v141
	v_dual_fmac_f32 v139, v82, v10 :: v_dual_fmac_f32 v142, v61, v0
	v_fma_f32 v82, v55, v8, -v150
	v_fma_f32 v58, v58, v10, -v151
	;; [unrolled: 1-line block ×3, first 2 shown]
	v_dual_fmac_f32 v103, v81, v8 :: v_dual_fmac_f32 v140, v76, v6
	v_fma_f32 v80, v27, v8, -v116
	v_fma_f32 v81, v51, v4, -v145
	v_dual_fmac_f32 v137, v79, v4 :: v_dual_fmac_f32 v134, v77, v6
	v_fma_f32 v79, v46, v6, -v146
	v_fma_f32 v77, v44, v2, -v148
	v_fmac_f32_e32 v131, v83, v10
	v_fma_f32 v83, v54, v8, -v149
	v_fma_f32 v76, v45, v2, -v157
	v_fmac_f32_e32 v143, v74, v2
	v_dual_fmac_f32 v136, v75, v2 :: v_dual_fmac_f32 v133, v72, v4
	v_dual_fmac_f32 v127, v73, v4 :: v_dual_fmac_f32 v128, v68, v6
	v_fma_f32 v72, v38, v0, -v156
	v_fma_f32 v59, v39, v0, -v160
	v_dual_fmac_f32 v135, v70, v0 :: v_dual_fmac_f32 v122, v69, v6
	v_fma_f32 v68, v42, v2, -v161
	v_fma_f32 v69, v33, v0, -v147
	v_dual_fmac_f32 v125, v85, v8 :: v_dual_fmac_f32 v104, v78, v10
	v_fmac_f32_e32 v119, v87, v10
	v_fma_f32 v54, v56, v8, -v153
	v_fma_f32 v52, v57, v8, -v154
	;; [unrolled: 1-line block ×6, first 2 shown]
	v_dual_fmac_f32 v129, v71, v0 :: v_dual_fmac_f32 v130, v66, v2
	v_fma_f32 v70, v48, v6, -v159
	v_fma_f32 v50, v49, v6, -v163
	;; [unrolled: 1-line block ×4, first 2 shown]
	v_dual_fmac_f32 v121, v64, v4 :: v_dual_fmac_f32 v124, v67, v2
	v_fma_f32 v56, v34, v0, -v164
	v_dual_fmac_f32 v123, v62, v0 :: v_dual_fmac_f32 v106, v60, v6
	v_fma_f32 v46, v37, v4, -v166
	;; [unrolled: 2-line block ×3, first 2 shown]
	v_fma_f32 v48, v35, v0, -v7
	v_dual_fmac_f32 v107, v63, v0 :: v_dual_add_f32 v10, v74, v78
	v_fma_f32 v49, v97, v2, -v1
	v_add_f32_e32 v0, v80, v77
	v_dual_add_f32 v2, v144, v69 :: v_dual_sub_f32 v3, v139, v142
	v_add_f32_e32 v8, v141, v72
	v_add_f32_e32 v4, v81, v79
	v_dual_sub_f32 v1, v138, v143 :: v_dual_add_f32 v6, v83, v76
	v_dual_sub_f32 v5, v140, v137 :: v_dual_add_f32 v18, v82, v68
	;; [unrolled: 1-line block ×4, first 2 shown]
	v_dual_sub_f32 v11, v134, v133 :: v_dual_sub_f32 v38, v119, v123
	v_dual_sub_f32 v27, v125, v130 :: v_dual_add_f32 v36, v54, v55
	v_sub_f32_e32 v33, v126, v129
	v_dual_sub_f32 v35, v128, v127 :: v_dual_sub_f32 v40, v122, v121
	v_dual_add_f32 v37, v53, v56 :: v_dual_add_f32 v42, v52, v49
	v_dual_add_f32 v39, v51, v50 :: v_dual_add_f32 v44, v46, v47
	v_dual_sub_f32 v41, v120, v124 :: v_dual_sub_f32 v60, v106, v105
	v_add_f32_e32 v43, v21, v48
	v_dual_sub_f32 v45, v104, v107 :: v_dual_add_f32 v62, v2, v0
	v_dual_sub_f32 v61, v103, v118 :: v_dual_add_f32 v64, v5, v3
	;; [unrolled: 1-line block ×3, first 2 shown]
	v_sub_f32_e32 v0, v0, v4
	v_dual_sub_f32 v2, v4, v2 :: v_dual_sub_f32 v65, v5, v3
	v_dual_sub_f32 v3, v3, v1 :: v_dual_sub_f32 v84, v32, v18
	v_add_f32_e32 v71, v11, v9
	v_sub_f32_e32 v73, v11, v9
	v_dual_sub_f32 v9, v9, v7 :: v_dual_sub_f32 v86, v35, v33
	v_add_f32_e32 v75, v32, v18
	v_sub_f32_e32 v5, v1, v5
	v_dual_sub_f32 v67, v8, v6 :: v_dual_sub_f32 v32, v34, v32
	v_sub_f32_e32 v6, v6, v10
	v_dual_sub_f32 v8, v10, v8 :: v_dual_sub_f32 v11, v7, v11
	v_add_f32_e32 v116, v40, v38
	v_dual_sub_f32 v18, v18, v34 :: v_dual_add_f32 v85, v35, v33
	v_dual_sub_f32 v33, v33, v27 :: v_dual_sub_f32 v146, v43, v42
	v_dual_add_f32 v87, v37, v36 :: v_dual_sub_f32 v148, v60, v45
	v_dual_sub_f32 v97, v37, v36 :: v_dual_add_f32 v4, v4, v62
	v_sub_f32_e32 v36, v36, v39
	v_dual_sub_f32 v117, v40, v38 :: v_dual_mul_f32 v0, 0x3f4a47b2, v0
	v_dual_sub_f32 v40, v41, v40 :: v_dual_add_f32 v145, v43, v42
	v_dual_mul_f32 v62, 0xbf08b237, v65 :: v_dual_sub_f32 v43, v44, v43
	v_dual_add_f32 v10, v10, v66 :: v_dual_add_f32 v147, v60, v45
	v_dual_sub_f32 v45, v45, v61 :: v_dual_add_f32 v34, v34, v75
	v_dual_add_f32 v1, v64, v1 :: v_dual_mul_f32 v6, 0x3f4a47b2, v6
	v_mul_f32_e32 v64, 0x3f5ff5aa, v3
	v_mul_f32_e32 v65, 0x3d64c772, v2
	v_dual_add_f32 v7, v71, v7 :: v_dual_mul_f32 v66, 0x3d64c772, v8
	v_dual_mul_f32 v71, 0xbf08b237, v73 :: v_dual_add_f32 v28, v28, v4
	v_dual_mul_f32 v73, 0x3f5ff5aa, v9 :: v_dual_add_f32 v30, v30, v34
	v_dual_sub_f32 v35, v27, v35 :: v_dual_sub_f32 v38, v38, v41
	v_dual_sub_f32 v37, v39, v37 :: v_dual_sub_f32 v60, v61, v60
	v_dual_sub_f32 v42, v42, v44 :: v_dual_add_f32 v27, v85, v27
	v_dual_mul_f32 v18, 0x3f4a47b2, v18 :: v_dual_add_f32 v41, v116, v41
	v_mul_f32_e32 v36, 0x3f4a47b2, v36
	v_dual_add_f32 v44, v44, v145 :: v_dual_mul_f32 v75, 0x3d64c772, v32
	v_fmamk_f32 v2, v2, 0x3d64c772, v0
	v_dual_mul_f32 v85, 0xbf08b237, v86 :: v_dual_mul_f32 v116, 0xbf08b237, v117
	v_fma_f32 v3, 0x3f5ff5aa, v3, -v62
	v_fmamk_f32 v62, v5, 0x3eae86e6, v62
	v_fma_f32 v5, 0xbeae86e6, v5, -v64
	v_fma_f32 v64, 0x3f3bfb3b, v63, -v65
	v_fmamk_f32 v65, v11, 0x3eae86e6, v71
	v_dual_add_f32 v29, v29, v10 :: v_dual_add_f32 v26, v26, v44
	v_fma_f32 v9, 0x3f5ff5aa, v9, -v71
	v_fma_f32 v11, 0xbeae86e6, v11, -v73
	v_dual_add_f32 v39, v39, v87 :: v_dual_mul_f32 v86, 0x3f5ff5aa, v33
	v_dual_add_f32 v61, v147, v61 :: v_dual_mul_f32 v42, 0x3f4a47b2, v42
	v_dual_mul_f32 v87, 0x3d64c772, v37 :: v_dual_fmamk_f32 v8, v8, 0x3d64c772, v6
	v_mul_f32_e32 v117, 0x3f5ff5aa, v38
	v_dual_mul_f32 v145, 0x3d64c772, v43 :: v_dual_fmamk_f32 v32, v32, 0x3d64c772, v18
	v_fma_f32 v0, 0xbf3bfb3b, v63, -v0
	v_fma_f32 v63, 0x3f3bfb3b, v67, -v66
	;; [unrolled: 1-line block ×4, first 2 shown]
	v_fmamk_f32 v4, v4, 0xbf955555, v28
	v_dual_fmac_f32 v62, 0x3ee1c552, v1 :: v_dual_fmac_f32 v65, 0x3ee1c552, v7
	s_delay_alu instid0(VALU_DEP_3)
	v_dual_fmac_f32 v9, 0x3ee1c552, v7 :: v_dual_fmac_f32 v38, 0x3ee1c552, v41
	v_fmac_f32_e32 v11, 0x3ee1c552, v7
	v_fmamk_f32 v7, v34, 0xbf955555, v30
	v_fmac_f32_e32 v3, 0x3ee1c552, v1
	v_fmac_f32_e32 v5, 0x3ee1c552, v1
	v_fmamk_f32 v1, v10, 0xbf955555, v29
	v_mul_f32_e32 v147, 0xbf08b237, v148
	v_fma_f32 v6, 0xbf3bfb3b, v67, -v6
	v_dual_fmamk_f32 v67, v35, 0x3eae86e6, v85 :: v_dual_add_f32 v2, v2, v4
	v_dual_fmamk_f32 v37, v37, 0x3d64c772, v36 :: v_dual_add_f32 v34, v64, v4
	;; [unrolled: 1-line block ×3, first 2 shown]
	v_dual_add_f32 v4, v8, v1 :: v_dual_add_f32 v31, v31, v39
	v_mul_f32_e32 v148, 0x3f5ff5aa, v45
	v_fma_f32 v33, 0x3f5ff5aa, v33, -v85
	v_fma_f32 v35, 0xbeae86e6, v35, -v86
	;; [unrolled: 1-line block ×3, first 2 shown]
	v_fmamk_f32 v84, v60, 0x3eae86e6, v147
	v_fma_f32 v71, 0x3f3bfb3b, v97, -v87
	v_fma_f32 v36, 0xbf3bfb3b, v97, -v36
	v_dual_fmamk_f32 v73, v40, 0x3eae86e6, v116 :: v_dual_add_f32 v8, v63, v1
	v_fma_f32 v40, 0xbeae86e6, v40, -v117
	v_fmamk_f32 v10, v39, 0xbf955555, v31
	v_fma_f32 v75, 0x3f3bfb3b, v146, -v145
	v_fma_f32 v42, 0xbf3bfb3b, v146, -v42
	;; [unrolled: 1-line block ×4, first 2 shown]
	v_dual_fmac_f32 v67, 0x3ee1c552, v27 :: v_dual_fmac_f32 v84, 0x3ee1c552, v61
	v_fmac_f32_e32 v33, 0x3ee1c552, v27
	v_fmac_f32_e32 v35, 0x3ee1c552, v27
	v_dual_add_f32 v1, v6, v1 :: v_dual_add_f32 v6, v32, v7
	v_fmamk_f32 v27, v44, 0xbf955555, v26
	v_fmac_f32_e32 v73, 0x3ee1c552, v41
	v_fmac_f32_e32 v40, 0x3ee1c552, v41
	v_add_f32_e32 v32, v66, v7
	v_dual_add_f32 v7, v18, v7 :: v_dual_add_f32 v18, v37, v10
	v_add_f32_e32 v37, v71, v10
	v_dual_add_f32 v10, v36, v10 :: v_dual_fmac_f32 v45, 0x3ee1c552, v61
	v_add_f32_e32 v36, v43, v27
	v_dual_fmac_f32 v60, 0x3ee1c552, v61 :: v_dual_add_f32 v39, v75, v27
	v_add_f32_e32 v27, v42, v27
	v_add_f32_e32 v41, v62, v2
	v_dual_sub_f32 v42, v34, v3 :: v_dual_add_f32 v3, v3, v34
	v_add_f32_e32 v34, v5, v0
	v_sub_f32_e32 v0, v0, v5
	v_dual_sub_f32 v5, v8, v9 :: v_dual_add_f32 v8, v9, v8
	v_dual_sub_f32 v44, v37, v38 :: v_dual_add_f32 v9, v11, v1
	v_sub_f32_e32 v1, v1, v11
	v_sub_f32_e32 v43, v32, v33
	v_dual_add_f32 v37, v38, v37 :: v_dual_add_f32 v38, v40, v10
	v_sub_f32_e32 v10, v10, v40
	v_add_f32_e32 v40, v73, v18
	v_dual_sub_f32 v2, v2, v62 :: v_dual_add_f32 v11, v65, v4
	v_sub_f32_e32 v62, v18, v73
	v_sub_f32_e32 v4, v4, v65
	v_dual_add_f32 v32, v33, v32 :: v_dual_add_f32 v33, v35, v7
	v_sub_f32_e32 v63, v39, v45
	v_add_f32_e32 v39, v45, v39
	v_add_f32_e32 v45, v60, v27
	v_sub_f32_e32 v27, v27, v60
	v_add_f32_e32 v60, v84, v36
	v_lshl_add_u32 v61, v102, 2, 0
	v_dual_sub_f32 v7, v7, v35 :: v_dual_sub_f32 v18, v36, v84
	v_dual_add_f32 v35, v67, v6 :: v_dual_sub_f32 v6, v6, v67
	ds_store_2addr_b32 v98, v28, v41 offset1:4
	ds_store_2addr_b32 v98, v34, v42 offset0:8 offset1:12
	ds_store_2addr_b32 v98, v3, v0 offset0:16 offset1:20
	ds_store_b32 v98, v2 offset:96
	ds_store_2addr_b32 v101, v29, v11 offset1:4
	ds_store_2addr_b32 v101, v9, v5 offset0:8 offset1:12
	ds_store_2addr_b32 v101, v8, v1 offset0:16 offset1:20
	ds_store_b32 v101, v4 offset:96
	;; [unrolled: 4-line block ×5, first 2 shown]
	v_add_nc_u32_e32 v60, 0x600, v109
	v_add_nc_u32_e32 v73, 0xa00, v109
	;; [unrolled: 1-line block ×3, first 2 shown]
	global_wb scope:SCOPE_SE
	s_wait_dscnt 0x0
	s_barrier_signal -1
	s_barrier_wait -1
	global_inv scope:SCOPE_SE
	ds_load_2addr_b32 v[32:33], v109 offset1:56
	ds_load_2addr_b32 v[28:29], v96 offset0:84 offset1:140
	ds_load_2addr_b32 v[34:35], v109 offset0:112 offset1:168
	;; [unrolled: 1-line block ×7, first 2 shown]
	v_lshl_add_u32 v116, v88, 2, 0
	ds_load_2addr_b32 v[4:5], v93 offset0:148 offset1:204
	ds_load_2addr_b32 v[30:31], v60 offset0:120 offset1:176
	;; [unrolled: 1-line block ×8, first 2 shown]
	ds_load_b32 v117, v116
	ds_load_b32 v14, v109 offset:7504
	s_and_saveexec_b32 s1, s0
	s_cbranch_execz .LBB0_21
; %bb.20:
	ds_load_b32 v18, v109 offset:3808
	ds_load_b32 v15, v109 offset:7728
.LBB0_21:
	s_wait_alu 0xfffe
	s_or_b32 exec_lo, exec_lo, s1
	v_dual_add_f32 v62, v138, v143 :: v_dual_add_f32 v63, v139, v142
	v_dual_sub_f32 v64, v80, v77 :: v_dual_add_f32 v65, v137, v140
	v_sub_f32_e32 v66, v144, v69
	s_delay_alu instid0(VALU_DEP_3) | instskip(NEXT) | instid1(VALU_DEP_3)
	v_dual_sub_f32 v54, v54, v55 :: v_dual_add_f32 v69, v63, v62
	v_dual_sub_f32 v71, v63, v62 :: v_dual_sub_f32 v62, v62, v65
	v_sub_f32_e32 v63, v65, v63
	v_sub_f32_e32 v67, v79, v81
	s_delay_alu instid0(VALU_DEP_4) | instskip(NEXT) | instid1(VALU_DEP_4)
	v_dual_add_f32 v65, v65, v69 :: v_dual_sub_f32 v50, v50, v51
	v_mul_f32_e32 v62, 0x3f4a47b2, v62
	global_wb scope:SCOPE_SE
	s_wait_dscnt 0x0
	s_barrier_signal -1
	v_add_f32_e32 v24, v24, v65
	s_barrier_wait -1
	global_inv scope:SCOPE_SE
	v_sub_f32_e32 v74, v78, v74
	v_dual_sub_f32 v76, v83, v76 :: v_dual_fmamk_f32 v65, v65, 0xbf955555, v24
	v_add_f32_e32 v77, v67, v66
	v_dual_sub_f32 v69, v67, v66 :: v_dual_sub_f32 v66, v66, v64
	v_dual_sub_f32 v67, v64, v67 :: v_dual_add_f32 v80, v133, v134
	s_delay_alu instid0(VALU_DEP_2) | instskip(NEXT) | instid1(VALU_DEP_3)
	v_dual_add_f32 v64, v77, v64 :: v_dual_mul_f32 v69, 0xbf08b237, v69
	v_dual_mul_f32 v79, 0x3f5ff5aa, v66 :: v_dual_sub_f32 v72, v141, v72
	v_sub_f32_e32 v68, v82, v68
	v_add_f32_e32 v82, v127, v128
	s_delay_alu instid0(VALU_DEP_4)
	v_fma_f32 v66, 0x3f5ff5aa, v66, -v69
	v_sub_f32_e32 v58, v58, v59
	v_sub_f32_e32 v57, v70, v57
	v_add_f32_e32 v55, v121, v122
	v_sub_f32_e32 v53, v53, v56
	v_fmac_f32_e32 v66, 0x3ee1c552, v64
	v_mul_f32_e32 v77, 0x3d64c772, v63
	v_fmamk_f32 v63, v63, 0x3d64c772, v62
	v_fma_f32 v62, 0xbf3bfb3b, v71, -v62
	v_sub_f32_e32 v49, v52, v49
	v_sub_f32_e32 v21, v21, v48
	v_fma_f32 v77, 0x3f3bfb3b, v71, -v77
	v_fmamk_f32 v71, v67, 0x3eae86e6, v69
	v_fma_f32 v67, 0xbeae86e6, v67, -v79
	v_dual_add_f32 v62, v62, v65 :: v_dual_add_f32 v79, v131, v135
	s_delay_alu instid0(VALU_DEP_4) | instskip(NEXT) | instid1(VALU_DEP_3)
	v_add_f32_e32 v69, v77, v65
	v_fmac_f32_e32 v67, 0x3ee1c552, v64
	v_add_f32_e32 v83, v74, v72
	s_delay_alu instid0(VALU_DEP_3) | instskip(SKIP_1) | instid1(VALU_DEP_1)
	v_dual_add_f32 v77, v66, v69 :: v_dual_sub_f32 v66, v69, v66
	v_add_f32_e32 v69, v132, v136
	v_dual_fmac_f32 v71, 0x3ee1c552, v64 :: v_dual_add_f32 v78, v79, v69
	s_delay_alu instid0(VALU_DEP_1) | instskip(NEXT) | instid1(VALU_DEP_1)
	v_dual_add_f32 v63, v63, v65 :: v_dual_add_f32 v78, v80, v78
	v_dual_sub_f32 v64, v63, v71 :: v_dual_add_f32 v25, v25, v78
	s_delay_alu instid0(VALU_DEP_1)
	v_dual_fmamk_f32 v78, v78, 0xbf955555, v25 :: v_dual_sub_f32 v81, v79, v69
	v_sub_f32_e32 v69, v69, v80
	v_dual_sub_f32 v79, v80, v79 :: v_dual_sub_f32 v80, v74, v72
	v_dual_sub_f32 v74, v76, v74 :: v_dual_sub_f32 v65, v62, v67
	v_sub_f32_e32 v72, v72, v76
	v_add_f32_e32 v62, v67, v62
	s_delay_alu instid0(VALU_DEP_4) | instskip(SKIP_1) | instid1(VALU_DEP_4)
	v_mul_f32_e32 v80, 0xbf08b237, v80
	v_add_f32_e32 v76, v83, v76
	v_mul_f32_e32 v84, 0x3f5ff5aa, v72
	s_delay_alu instid0(VALU_DEP_3) | instskip(NEXT) | instid1(VALU_DEP_1)
	v_fma_f32 v72, 0x3f5ff5aa, v72, -v80
	v_fmac_f32_e32 v72, 0x3ee1c552, v76
	v_mul_f32_e32 v83, 0x3d64c772, v79
	v_mul_f32_e32 v69, 0x3f4a47b2, v69
	s_delay_alu instid0(VALU_DEP_2) | instskip(NEXT) | instid1(VALU_DEP_2)
	v_fma_f32 v83, 0x3f3bfb3b, v81, -v83
	v_fmamk_f32 v79, v79, 0x3d64c772, v69
	v_fma_f32 v69, 0xbf3bfb3b, v81, -v69
	v_fmamk_f32 v81, v74, 0x3eae86e6, v80
	v_fma_f32 v74, 0xbeae86e6, v74, -v84
	v_add_f32_e32 v80, v83, v78
	v_add_f32_e32 v79, v79, v78
	;; [unrolled: 1-line block ×3, first 2 shown]
	v_fmac_f32_e32 v81, 0x3ee1c552, v76
	v_fmac_f32_e32 v74, 0x3ee1c552, v76
	v_add_f32_e32 v76, v72, v80
	v_sub_f32_e32 v72, v80, v72
	v_add_f32_e32 v78, v125, v130
	v_dual_add_f32 v80, v126, v129 :: v_dual_add_f32 v63, v71, v63
	v_sub_f32_e32 v67, v79, v81
	v_sub_f32_e32 v71, v69, v74
	s_delay_alu instid0(VALU_DEP_3) | instskip(SKIP_3) | instid1(VALU_DEP_4)
	v_add_f32_e32 v59, v80, v78
	v_sub_f32_e32 v70, v80, v78
	v_sub_f32_e32 v78, v78, v82
	;; [unrolled: 1-line block ×3, first 2 shown]
	v_dual_add_f32 v59, v82, v59 :: v_dual_sub_f32 v82, v57, v58
	v_add_f32_e32 v83, v57, v58
	s_delay_alu instid0(VALU_DEP_4) | instskip(SKIP_1) | instid1(VALU_DEP_4)
	v_dual_sub_f32 v57, v68, v57 :: v_dual_mul_f32 v78, 0x3f4a47b2, v78
	v_sub_f32_e32 v58, v58, v68
	v_add_f32_e32 v22, v22, v59
	s_delay_alu instid0(VALU_DEP_4) | instskip(NEXT) | instid1(VALU_DEP_4)
	v_add_f32_e32 v68, v83, v68
	v_dual_mul_f32 v83, 0x3d64c772, v80 :: v_dual_fmamk_f32 v80, v80, 0x3d64c772, v78
	s_delay_alu instid0(VALU_DEP_4) | instskip(NEXT) | instid1(VALU_DEP_4)
	v_mul_f32_e32 v84, 0x3f5ff5aa, v58
	v_fmamk_f32 v59, v59, 0xbf955555, v22
	s_delay_alu instid0(VALU_DEP_3) | instskip(SKIP_2) | instid1(VALU_DEP_1)
	v_fma_f32 v83, 0x3f3bfb3b, v70, -v83
	v_fma_f32 v70, 0xbf3bfb3b, v70, -v78
	v_mul_f32_e32 v82, 0xbf08b237, v82
	v_fma_f32 v58, 0x3f5ff5aa, v58, -v82
	s_delay_alu instid0(VALU_DEP_1) | instskip(SKIP_2) | instid1(VALU_DEP_2)
	v_fmac_f32_e32 v58, 0x3ee1c552, v68
	v_fmamk_f32 v78, v57, 0x3eae86e6, v82
	v_fma_f32 v57, 0xbeae86e6, v57, -v84
	v_fmac_f32_e32 v78, 0x3ee1c552, v68
	s_delay_alu instid0(VALU_DEP_2)
	v_dual_fmac_f32 v57, 0x3ee1c552, v68 :: v_dual_add_f32 v68, v74, v69
	v_add_f32_e32 v82, v83, v59
	v_add_f32_e32 v80, v80, v59
	;; [unrolled: 1-line block ×6, first 2 shown]
	v_sub_f32_e32 v58, v82, v58
	v_dual_add_f32 v82, v119, v123 :: v_dual_add_f32 v83, v50, v53
	s_delay_alu instid0(VALU_DEP_1) | instskip(SKIP_1) | instid1(VALU_DEP_2)
	v_dual_add_f32 v51, v82, v81 :: v_dual_sub_f32 v70, v80, v78
	v_sub_f32_e32 v74, v59, v57
	v_dual_add_f32 v51, v55, v51 :: v_dual_sub_f32 v56, v82, v81
	v_dual_sub_f32 v81, v81, v55 :: v_dual_sub_f32 v82, v55, v82
	v_sub_f32_e32 v55, v50, v53
	s_delay_alu instid0(VALU_DEP_3) | instskip(NEXT) | instid1(VALU_DEP_3)
	v_add_f32_e32 v23, v23, v51
	v_mul_f32_e32 v81, 0x3f4a47b2, v81
	v_sub_f32_e32 v53, v53, v54
	s_delay_alu instid0(VALU_DEP_4) | instskip(SKIP_1) | instid1(VALU_DEP_4)
	v_dual_sub_f32 v50, v54, v50 :: v_dual_mul_f32 v55, 0xbf08b237, v55
	v_add_f32_e32 v54, v83, v54
	v_dual_mul_f32 v83, 0x3d64c772, v82 :: v_dual_fmamk_f32 v82, v82, 0x3d64c772, v81
	v_fmamk_f32 v51, v51, 0xbf955555, v23
	v_mul_f32_e32 v84, 0x3f5ff5aa, v53
	v_fma_f32 v53, 0x3f5ff5aa, v53, -v55
	s_delay_alu instid0(VALU_DEP_4)
	v_fma_f32 v83, 0x3f3bfb3b, v56, -v83
	v_fma_f32 v56, 0xbf3bfb3b, v56, -v81
	v_fmamk_f32 v81, v50, 0x3eae86e6, v55
	v_add_f32_e32 v55, v82, v51
	v_fma_f32 v50, 0xbeae86e6, v50, -v84
	v_fmac_f32_e32 v53, 0x3ee1c552, v54
	s_delay_alu instid0(VALU_DEP_4) | instskip(NEXT) | instid1(VALU_DEP_3)
	v_fmac_f32_e32 v81, 0x3ee1c552, v54
	v_fmac_f32_e32 v50, 0x3ee1c552, v54
	v_add_f32_e32 v54, v57, v59
	v_add_f32_e32 v82, v83, v51
	v_dual_add_f32 v51, v56, v51 :: v_dual_add_f32 v56, v78, v80
	v_add_f32_e32 v80, v103, v118
	s_delay_alu instid0(VALU_DEP_3) | instskip(SKIP_4) | instid1(VALU_DEP_4)
	v_dual_add_f32 v78, v53, v82 :: v_dual_sub_f32 v53, v82, v53
	v_add_f32_e32 v82, v104, v107
	v_add_f32_e32 v52, v105, v106
	v_sub_f32_e32 v46, v47, v46
	v_sub_f32_e32 v57, v55, v81
	v_add_f32_e32 v47, v82, v80
	v_dual_sub_f32 v59, v51, v50 :: v_dual_sub_f32 v48, v82, v80
	v_sub_f32_e32 v80, v80, v52
	s_delay_alu instid0(VALU_DEP_3) | instskip(SKIP_3) | instid1(VALU_DEP_4)
	v_add_f32_e32 v47, v52, v47
	v_dual_sub_f32 v82, v52, v82 :: v_dual_add_f32 v83, v46, v21
	v_sub_f32_e32 v52, v46, v21
	v_sub_f32_e32 v46, v49, v46
	v_dual_sub_f32 v21, v21, v49 :: v_dual_add_f32 v20, v20, v47
	s_delay_alu instid0(VALU_DEP_4) | instskip(SKIP_2) | instid1(VALU_DEP_4)
	v_add_f32_e32 v49, v83, v49
	v_mul_f32_e32 v83, 0x3d64c772, v82
	v_mul_f32_e32 v52, 0xbf08b237, v52
	;; [unrolled: 1-line block ×3, first 2 shown]
	v_fmamk_f32 v47, v47, 0xbf955555, v20
	v_mul_f32_e32 v80, 0x3f4a47b2, v80
	v_fma_f32 v83, 0x3f3bfb3b, v48, -v83
	v_fma_f32 v21, 0x3f5ff5aa, v21, -v52
	s_delay_alu instid0(VALU_DEP_3) | instskip(SKIP_1) | instid1(VALU_DEP_3)
	v_fmamk_f32 v82, v82, 0x3d64c772, v80
	v_fma_f32 v48, 0xbf3bfb3b, v48, -v80
	v_fmac_f32_e32 v21, 0x3ee1c552, v49
	v_fmamk_f32 v80, v46, 0x3eae86e6, v52
	v_fma_f32 v46, 0xbeae86e6, v46, -v84
	v_add_f32_e32 v52, v82, v47
	v_add_f32_e32 v82, v83, v47
	s_delay_alu instid0(VALU_DEP_4) | instskip(NEXT) | instid1(VALU_DEP_4)
	v_dual_add_f32 v47, v48, v47 :: v_dual_fmac_f32 v80, 0x3ee1c552, v49
	v_fmac_f32_e32 v46, 0x3ee1c552, v49
	v_add_f32_e32 v48, v50, v51
	s_delay_alu instid0(VALU_DEP_3) | instskip(NEXT) | instid1(VALU_DEP_3)
	v_dual_add_f32 v49, v81, v55 :: v_dual_sub_f32 v50, v52, v80
	v_sub_f32_e32 v51, v47, v46
	v_add_f32_e32 v55, v21, v82
	v_dual_sub_f32 v21, v82, v21 :: v_dual_add_f32 v118, v80, v52
	v_add_f32_e32 v46, v46, v47
	ds_store_2addr_b32 v98, v24, v64 offset1:4
	ds_store_2addr_b32 v98, v65, v77 offset0:8 offset1:12
	ds_store_2addr_b32 v98, v66, v62 offset0:16 offset1:20
	ds_store_b32 v98, v63 offset:96
	ds_store_2addr_b32 v101, v25, v67 offset1:4
	ds_store_2addr_b32 v101, v71, v76 offset0:8 offset1:12
	ds_store_2addr_b32 v101, v72, v68 offset0:16 offset1:20
	ds_store_b32 v101, v69 offset:96
	;; [unrolled: 4-line block ×5, first 2 shown]
	v_add_nc_u32_e32 v20, 0xe00, v109
	global_wb scope:SCOPE_SE
	s_wait_dscnt 0x0
	s_barrier_signal -1
	s_barrier_wait -1
	global_inv scope:SCOPE_SE
	v_add_nc_u32_e32 v21, 0x1000, v109
	ds_load_2addr_b32 v[68:69], v20 offset0:84 offset1:140
	v_add_nc_u32_e32 v20, 0x200, v109
	v_add_nc_u32_e32 v22, 0x400, v109
	ds_load_2addr_b32 v[52:53], v109 offset1:56
	ds_load_2addr_b32 v[48:49], v109 offset0:112 offset1:168
	ds_load_2addr_b32 v[70:71], v21 offset0:68 offset1:124
	v_add_nc_u32_e32 v23, 0x1400, v109
	ds_load_2addr_b32 v[54:55], v20 offset0:96 offset1:152
	ds_load_2addr_b32 v[64:65], v21 offset0:180 offset1:236
	;; [unrolled: 1-line block ×3, first 2 shown]
	v_add_nc_u32_e32 v22, 0x800, v109
	v_add_nc_u32_e32 v24, 0x1800, v109
	;; [unrolled: 1-line block ×3, first 2 shown]
	ds_load_2addr_b32 v[66:67], v23 offset0:36 offset1:92
	ds_load_2addr_b32 v[58:59], v23 offset0:148 offset1:204
	;; [unrolled: 1-line block ×9, first 2 shown]
	ds_load_b32 v119, v116
	ds_load_b32 v120, v109 offset:7504
	s_and_saveexec_b32 s1, s0
	s_cbranch_execz .LBB0_23
; %bb.22:
	ds_load_b32 v118, v109 offset:3808
	ds_load_b32 v19, v109 offset:7728
.LBB0_23:
	s_wait_alu 0xfffe
	s_or_b32 exec_lo, exec_lo, s1
	v_lshrrev_b16 v72, 2, v110
	v_lshrrev_b16 v74, 2, v111
	;; [unrolled: 1-line block ×3, first 2 shown]
	v_subrev_nc_u32_e32 v73, 28, v108
	v_mov_b32_e32 v122, 0
	v_and_b32_e32 v72, 63, v72
	v_and_b32_e32 v74, 63, v74
	;; [unrolled: 1-line block ×3, first 2 shown]
	v_lshrrev_b16 v76, 2, v113
	v_lshrrev_b16 v77, 2, v114
	v_mul_lo_u16 v72, v72, 37
	v_lshrrev_b16 v78, 2, v115
	v_cndmask_b32_e64 v121, v73, v108, s0
	v_mul_lo_u16 v74, v74, 37
	v_mul_lo_u16 v75, v75, 37
	v_lshrrev_b16 v123, 8, v72
	v_and_b32_e32 v76, 0xffff, v76
	v_and_b32_e32 v77, 0xffff, v77
	;; [unrolled: 1-line block ×3, first 2 shown]
	v_lshlrev_b64_e32 v[72:73], 3, v[121:122]
	v_mul_lo_u16 v79, v123, 28
	v_lshrrev_b16 v122, 8, v74
	v_lshrrev_b16 v124, 8, v75
	v_mul_u32_u24_e32 v76, 0x4925, v76
	v_mul_u32_u24_e32 v77, 0x4925, v77
	v_sub_nc_u16 v74, v110, v79
	v_mul_u32_u24_e32 v78, 0x4925, v78
	v_mul_lo_u16 v75, v124, 28
	v_lshrrev_b32_e32 v125, 17, v76
	v_lshrrev_b32_e32 v127, 17, v77
	v_and_b32_e32 v126, 0xff, v74
	v_mul_lo_u16 v74, v122, 28
	v_lshrrev_b32_e32 v128, 17, v78
	v_sub_nc_u16 v75, v112, v75
	v_mul_lo_u16 v77, v125, 28
	v_mul_lo_u16 v78, v127, 28
	v_sub_nc_u16 v74, v111, v74
	v_mul_lo_u16 v79, v128, 28
	v_add_co_u32 v72, s1, s8, v72
	v_and_b32_e32 v130, 0xff, v75
	s_delay_alu instid0(VALU_DEP_4)
	v_and_b32_e32 v129, 0xff, v74
	s_wait_alu 0xf1ff
	v_add_co_ci_u32_e64 v73, s1, s9, v73, s1
	v_sub_nc_u16 v74, v113, v77
	v_sub_nc_u16 v75, v114, v78
	;; [unrolled: 1-line block ×3, first 2 shown]
	v_lshlrev_b32_e32 v76, 3, v126
	v_lshlrev_b32_e32 v78, 3, v129
	;; [unrolled: 1-line block ×3, first 2 shown]
	v_and_b32_e32 v131, 0xffff, v74
	v_and_b32_e32 v132, 0xffff, v75
	;; [unrolled: 1-line block ×3, first 2 shown]
	s_clause 0x3
	global_load_b64 v[74:75], v[72:73], off offset:192
	global_load_b64 v[76:77], v76, s[8:9] offset:192
	global_load_b64 v[78:79], v78, s[8:9] offset:192
	;; [unrolled: 1-line block ×3, first 2 shown]
	v_add_nc_u16 v84, v108, 0x230
	v_lshrrev_b16 v86, 2, v89
	v_add_nc_u16 v83, v108, 0x1f8
	v_add_nc_u16 v85, v108, 0x268
	v_lshrrev_b16 v87, 2, v88
	v_lshrrev_b16 v91, 2, v84
	v_and_b32_e32 v86, 0xffff, v86
	v_lshrrev_b16 v90, 2, v83
	v_lshrrev_b16 v92, 2, v85
	v_and_b32_e32 v87, 0xffff, v87
	v_and_b32_e32 v91, 0xffff, v91
	v_mul_u32_u24_e32 v86, 0x4925, v86
	v_and_b32_e32 v90, 0xffff, v90
	v_and_b32_e32 v92, 0xffff, v92
	v_cmp_lt_u32_e64 s1, 27, v108
	v_mul_u32_u24_e32 v91, 0x4925, v91
	v_lshrrev_b32_e32 v134, 17, v86
	v_mul_u32_u24_e32 v87, 0x4925, v87
	v_mul_u32_u24_e32 v90, 0x4925, v90
	;; [unrolled: 1-line block ×3, first 2 shown]
	v_lshrrev_b32_e32 v137, 17, v91
	v_mul_lo_u16 v86, v134, 28
	s_wait_alu 0xf1ff
	v_cndmask_b32_e64 v155, 0, 0xe0, s1
	v_lshlrev_b32_e32 v121, 2, v121
	v_and_b32_e32 v124, 0xffff, v124
	v_mul_lo_u16 v91, v137, 28
	v_lshrrev_b32_e32 v135, 17, v87
	v_lshrrev_b32_e32 v136, 17, v90
	;; [unrolled: 1-line block ×3, first 2 shown]
	v_lshlrev_b32_e32 v80, 3, v131
	v_sub_nc_u16 v84, v84, v91
	v_lshlrev_b32_e32 v81, 3, v132
	v_sub_nc_u16 v86, v89, v86
	v_add3_u32 v121, 0, v155, v121
	v_mul_u32_u24_e32 v155, 0xe0, v125
	v_and_b32_e32 v142, 0xffff, v84
	v_mul_u32_u24_e32 v128, 0xe0, v128
	v_mul_u32_u24_e32 v125, 0xe0, v124
	v_lshlrev_b32_e32 v124, 2, v126
	v_lshlrev_b32_e32 v126, 2, v129
	;; [unrolled: 1-line block ×6, first 2 shown]
	v_mul_lo_u16 v87, v135, 28
	v_mul_lo_u16 v90, v136, 28
	;; [unrolled: 1-line block ×3, first 2 shown]
	v_and_b32_e32 v139, 0xffff, v86
	v_lshlrev_b32_e32 v86, 3, v142
	v_add3_u32 v128, 0, v128, v132
	v_lshlrev_b32_e32 v132, 2, v142
	v_sub_nc_u16 v87, v88, v87
	v_sub_nc_u16 v83, v83, v90
	;; [unrolled: 1-line block ×3, first 2 shown]
	v_or_b32_e32 v100, 0x380, v108
	v_mul_u32_u24_e32 v127, 0xe0, v127
	v_and_b32_e32 v140, 0xffff, v87
	v_and_b32_e32 v141, 0xffff, v83
	;; [unrolled: 1-line block ×3, first 2 shown]
	v_lshlrev_b32_e32 v83, 3, v139
	v_lshrrev_b16 v105, 2, v100
	v_lshlrev_b32_e32 v84, 3, v140
	v_lshlrev_b32_e32 v85, 3, v141
	;; [unrolled: 1-line block ×3, first 2 shown]
	v_mul_u32_u24_e32 v134, 0xe0, v134
	v_and_b32_e32 v105, 0xffff, v105
	v_add_nc_u16 v98, v108, 0x310
	v_mul_u32_u24_e32 v138, 0xe0, v138
	v_add3_u32 v125, 0, v125, v129
	v_add3_u32 v127, 0, v127, v131
	v_mul_u32_u24_e32 v105, 0x4925, v105
	v_lshlrev_b32_e32 v131, 2, v141
	v_add_nc_u16 v99, v108, 0x348
	v_lshrrev_b16 v103, 2, v98
	v_and_b32_e32 v123, 0xffff, v123
	v_lshrrev_b32_e32 v148, 17, v105
	v_and_b32_e32 v122, 0xffff, v122
	v_lshrrev_b16 v104, 2, v99
	v_mul_u32_u24_e32 v135, 0xe0, v135
	v_mul_u32_u24_e32 v123, 0xe0, v123
	v_mul_lo_u16 v105, v148, 28
	v_mul_u32_u24_e32 v148, 0xe0, v148
	v_and_b32_e32 v104, 0xffff, v104
	v_mul_u32_u24_e32 v122, 0xe0, v122
	v_mul_u32_u24_e32 v136, 0xe0, v136
	v_sub_nc_u16 v100, v100, v105
	v_mul_u32_u24_e32 v137, 0xe0, v137
	v_mul_u32_u24_e32 v104, 0x4925, v104
	v_add3_u32 v123, 0, v123, v124
	v_add3_u32 v124, 0, v122, v126
	v_and_b32_e32 v153, 0xffff, v100
	v_add3_u32 v126, 0, v155, v130
	v_lshrrev_b32_e32 v147, 17, v104
	v_add3_u32 v131, 0, v136, v131
	v_add3_u32 v132, 0, v137, v132
	v_lshlrev_b32_e32 v141, 2, v153
	s_delay_alu instid0(VALU_DEP_4) | instskip(SKIP_1) | instid1(VALU_DEP_2)
	v_mul_lo_u16 v104, v147, 28
	v_mul_u32_u24_e32 v147, 0xe0, v147
	v_sub_nc_u16 v99, v99, v104
	s_delay_alu instid0(VALU_DEP_1) | instskip(NEXT) | instid1(VALU_DEP_1)
	v_and_b32_e32 v152, 0xffff, v99
	v_lshlrev_b32_e32 v100, 3, v152
	s_wait_loadcnt_dscnt 0x311
	v_mul_f32_e32 v142, v68, v75
	s_delay_alu instid0(VALU_DEP_1) | instskip(NEXT) | instid1(VALU_DEP_1)
	v_fma_f32 v142, v28, v74, -v142
	v_sub_f32_e32 v142, v32, v142
	v_lshlrev_b32_e32 v82, 3, v133
	s_clause 0x7
	global_load_b64 v[90:91], v80, s[8:9] offset:192
	global_load_b64 v[92:93], v81, s[8:9] offset:192
	;; [unrolled: 1-line block ×8, first 2 shown]
	v_lshlrev_b32_e32 v133, 2, v139
	v_add_nc_u16 v80, v108, 0x2a0
	v_add_nc_u16 v81, v108, 0x2d8
	v_fma_f32 v32, v32, 2.0, -v142
	s_delay_alu instid0(VALU_DEP_4) | instskip(SKIP_3) | instid1(VALU_DEP_3)
	v_add3_u32 v129, 0, v134, v133
	v_lshlrev_b32_e32 v133, 2, v143
	v_lshrrev_b16 v101, 2, v80
	v_lshrrev_b16 v102, 2, v81
	v_add3_u32 v133, 0, v138, v133
	v_add3_u32 v138, 0, v148, v141
	s_delay_alu instid0(VALU_DEP_4) | instskip(SKIP_2) | instid1(VALU_DEP_2)
	v_and_b32_e32 v101, 0xffff, v101
	s_wait_loadcnt_dscnt 0x80e
	v_dual_mul_f32 v141, v71, v73 :: v_dual_and_b32 v102, 0xffff, v102
	v_mul_u32_u24_e32 v101, 0x4925, v101
	s_delay_alu instid0(VALU_DEP_2) | instskip(NEXT) | instid1(VALU_DEP_2)
	v_mul_u32_u24_e32 v102, 0x4925, v102
	v_lshrrev_b32_e32 v144, 17, v101
	s_delay_alu instid0(VALU_DEP_2) | instskip(NEXT) | instid1(VALU_DEP_2)
	v_lshrrev_b32_e32 v145, 17, v102
	v_mul_lo_u16 v101, v144, 28
	s_delay_alu instid0(VALU_DEP_2) | instskip(SKIP_2) | instid1(VALU_DEP_4)
	v_mul_lo_u16 v102, v145, 28
	v_mul_u32_u24_e32 v144, 0xe0, v144
	v_mul_u32_u24_e32 v145, 0xe0, v145
	v_sub_nc_u16 v80, v80, v101
	s_delay_alu instid0(VALU_DEP_4) | instskip(SKIP_1) | instid1(VALU_DEP_3)
	v_sub_nc_u16 v81, v81, v102
	v_lshlrev_b32_e32 v102, 3, v153
	v_and_b32_e32 v149, 0xffff, v80
	s_delay_alu instid0(VALU_DEP_3) | instskip(NEXT) | instid1(VALU_DEP_2)
	v_and_b32_e32 v150, 0xffff, v81
	v_lshlrev_b32_e32 v80, 3, v149
	s_delay_alu instid0(VALU_DEP_2) | instskip(SKIP_1) | instid1(VALU_DEP_1)
	v_lshlrev_b32_e32 v81, 3, v150
	v_lshlrev_b32_e32 v134, 2, v149
	v_add3_u32 v134, 0, v144, v134
	s_wait_loadcnt_dscnt 0x60c
	v_dual_mul_f32 v143, v64, v91 :: v_dual_mul_f32 v144, v65, v93
	s_wait_loadcnt_dscnt 0x7
	v_mul_f32_e32 v148, v61, v87
	s_delay_alu instid0(VALU_DEP_1) | instskip(NEXT) | instid1(VALU_DEP_1)
	v_fma_f32 v148, v7, v86, -v148
	v_dual_sub_f32 v148, v38, v148 :: v_dual_and_b32 v103, 0xffff, v103
	s_delay_alu instid0(VALU_DEP_1) | instskip(NEXT) | instid1(VALU_DEP_2)
	v_mul_u32_u24_e32 v103, 0x4925, v103
	v_fma_f32 v38, v38, 2.0, -v148
	s_delay_alu instid0(VALU_DEP_2) | instskip(NEXT) | instid1(VALU_DEP_1)
	v_lshrrev_b32_e32 v146, 17, v103
	v_mul_lo_u16 v103, v146, 28
	v_mul_u32_u24_e32 v146, 0xe0, v146
	s_delay_alu instid0(VALU_DEP_2) | instskip(NEXT) | instid1(VALU_DEP_1)
	v_sub_nc_u16 v98, v98, v103
	v_and_b32_e32 v151, 0xffff, v98
	s_delay_alu instid0(VALU_DEP_1)
	v_lshlrev_b32_e32 v98, 3, v151
	s_clause 0x4
	global_load_b64 v[106:107], v80, s[8:9] offset:192
	global_load_b64 v[104:105], v81, s[8:9] offset:192
	;; [unrolled: 1-line block ×5, first 2 shown]
	v_add_nc_u16 v80, v108, 0x3b8
	s_delay_alu instid0(VALU_DEP_1) | instskip(NEXT) | instid1(VALU_DEP_1)
	v_lshrrev_b16 v81, 2, v80
	v_and_b32_e32 v81, 0xffff, v81
	s_delay_alu instid0(VALU_DEP_1) | instskip(NEXT) | instid1(VALU_DEP_1)
	v_mul_u32_u24_e32 v81, 0x4925, v81
	v_lshrrev_b32_e32 v81, 17, v81
	s_delay_alu instid0(VALU_DEP_1) | instskip(NEXT) | instid1(VALU_DEP_1)
	v_mul_lo_u16 v81, v81, 28
	v_sub_nc_u16 v80, v80, v81
	s_delay_alu instid0(VALU_DEP_1) | instskip(NEXT) | instid1(VALU_DEP_1)
	v_and_b32_e32 v154, 0xffff, v80
	v_lshlrev_b32_e32 v80, 3, v154
	v_lshl_add_u32 v122, v154, 2, 0
	global_load_b64 v[80:81], v80, s[8:9] offset:192
	global_wb scope:SCOPE_SE
	s_wait_loadcnt_dscnt 0x0
	s_barrier_signal -1
	s_barrier_wait -1
	global_inv scope:SCOPE_SE
	ds_store_2addr_b32 v121, v32, v142 offset1:28
	v_fma_f32 v142, v9, v92, -v144
	s_delay_alu instid0(VALU_DEP_1) | instskip(NEXT) | instid1(VALU_DEP_1)
	v_sub_f32_e32 v142, v37, v142
	v_fma_f32 v37, v37, 2.0, -v142
	v_mul_f32_e32 v149, v62, v107
	v_mul_f32_e32 v153, v120, v103
	s_delay_alu instid0(VALU_DEP_2) | instskip(NEXT) | instid1(VALU_DEP_2)
	v_fma_f32 v149, v2, v106, -v149
	v_fma_f32 v153, v14, v102, -v153
	s_delay_alu instid0(VALU_DEP_2) | instskip(NEXT) | instid1(VALU_DEP_2)
	v_sub_f32_e32 v149, v39, v149
	v_sub_f32_e32 v153, v43, v153
	v_lshlrev_b32_e32 v139, 2, v140
	v_lshlrev_b32_e32 v140, 2, v152
	v_mul_f32_e32 v152, v57, v101
	v_fma_f32 v39, v39, 2.0, -v149
	v_fma_f32 v43, v43, 2.0, -v153
	v_add3_u32 v130, 0, v135, v139
	v_lshlrev_b32_e32 v135, 2, v150
	v_fma_f32 v152, v1, v100, -v152
	v_add3_u32 v137, 0, v147, v140
	v_mul_f32_e32 v140, v70, v79
	v_mul_f32_e32 v147, v58, v89
	v_add3_u32 v135, 0, v145, v135
	v_dual_sub_f32 v152, v42, v152 :: v_dual_lshlrev_b32 v139, 2, v151
	v_dual_mul_f32 v145, v66, v95 :: v_dual_mul_f32 v150, v63, v105
	v_mul_f32_e32 v151, v56, v99
	s_delay_alu instid0(VALU_DEP_3) | instskip(NEXT) | instid1(VALU_DEP_4)
	v_fma_f32 v42, v42, 2.0, -v152
	v_add3_u32 v136, 0, v146, v139
	v_mul_f32_e32 v139, v69, v77
	v_mul_f32_e32 v146, v67, v97
	v_fma_f32 v150, v3, v104, -v150
	v_fma_f32 v151, v0, v98, -v151
	s_delay_alu instid0(VALU_DEP_4)
	v_fma_f32 v32, v29, v76, -v139
	v_fma_f32 v139, v26, v78, -v140
	;; [unrolled: 1-line block ×7, first 2 shown]
	v_dual_mul_f32 v146, v59, v83 :: v_dual_mul_f32 v147, v60, v85
	v_dual_sub_f32 v32, v33, v32 :: v_dual_sub_f32 v139, v34, v139
	v_sub_f32_e32 v140, v35, v140
	s_delay_alu instid0(VALU_DEP_3) | instskip(NEXT) | instid1(VALU_DEP_4)
	v_fma_f32 v146, v5, v82, -v146
	v_fma_f32 v147, v6, v84, -v147
	v_sub_f32_e32 v141, v36, v141
	v_dual_sub_f32 v143, v44, v143 :: v_dual_sub_f32 v144, v45, v144
	v_sub_f32_e32 v145, v117, v145
	v_fma_f32 v33, v33, 2.0, -v32
	v_dual_sub_f32 v146, v30, v146 :: v_dual_sub_f32 v147, v31, v147
	v_dual_sub_f32 v150, v40, v150 :: v_dual_sub_f32 v151, v41, v151
	v_fma_f32 v34, v34, 2.0, -v139
	v_fma_f32 v35, v35, 2.0, -v140
	;; [unrolled: 1-line block ×10, first 2 shown]
	ds_store_2addr_b32 v123, v33, v32 offset1:28
	ds_store_2addr_b32 v124, v34, v139 offset1:28
	;; [unrolled: 1-line block ×16, first 2 shown]
	s_and_saveexec_b32 s1, s0
	s_cbranch_execz .LBB0_25
; %bb.24:
	v_dual_mul_f32 v30, v19, v81 :: v_dual_add_nc_u32 v31, 0x1c00, v122
	s_delay_alu instid0(VALU_DEP_1) | instskip(NEXT) | instid1(VALU_DEP_1)
	v_fma_f32 v30, v15, v80, -v30
	v_sub_f32_e32 v30, v18, v30
	s_delay_alu instid0(VALU_DEP_1)
	v_fma_f32 v18, v18, 2.0, -v30
	ds_store_2addr_b32 v31, v18, v30 offset0:112 offset1:140
.LBB0_25:
	s_wait_alu 0xfffe
	s_or_b32 exec_lo, exec_lo, s1
	v_dual_mul_f32 v18, v28, v75 :: v_dual_mul_f32 v27, v27, v73
	v_dual_mul_f32 v10, v10, v95 :: v_dual_mul_f32 v3, v3, v105
	;; [unrolled: 1-line block ×3, first 2 shown]
	s_delay_alu instid0(VALU_DEP_3) | instskip(NEXT) | instid1(VALU_DEP_4)
	v_dual_mul_f32 v28, v29, v77 :: v_dual_fmac_f32 v27, v71, v72
	v_dual_fmac_f32 v18, v68, v74 :: v_dual_mul_f32 v11, v11, v97
	v_mul_f32_e32 v8, v8, v91
	v_dual_fmac_f32 v10, v66, v94 :: v_dual_mul_f32 v1, v1, v101
	v_dual_fmac_f32 v26, v70, v78 :: v_dual_fmac_f32 v9, v65, v92
	v_dual_mul_f32 v4, v4, v89 :: v_dual_mul_f32 v5, v5, v83
	v_mul_f32_e32 v14, v14, v103
	v_dual_fmac_f32 v28, v69, v76 :: v_dual_mul_f32 v7, v7, v87
	v_dual_fmac_f32 v11, v67, v96 :: v_dual_fmac_f32 v8, v64, v90
	v_dual_fmac_f32 v3, v63, v104 :: v_dual_mul_f32 v2, v2, v107
	v_dual_fmac_f32 v1, v57, v100 :: v_dual_mul_f32 v0, v0, v99
	s_delay_alu instid0(VALU_DEP_4) | instskip(SKIP_3) | instid1(VALU_DEP_3)
	v_dual_mul_f32 v6, v6, v85 :: v_dual_fmac_f32 v7, v61, v86
	v_dual_fmac_f32 v4, v58, v88 :: v_dual_fmac_f32 v5, v59, v82
	v_sub_f32_e32 v59, v48, v26
	v_dual_fmac_f32 v14, v120, v102 :: v_dual_add_nc_u32 v45, 0x1200, v109
	v_dual_fmac_f32 v2, v62, v106 :: v_dual_sub_f32 v69, v119, v4
	v_dual_sub_f32 v61, v54, v8 :: v_dual_fmac_f32 v0, v56, v98
	v_dual_fmac_f32 v6, v60, v84 :: v_dual_add_nc_u32 v43, 0x1800, v109
	v_dual_sub_f32 v79, v46, v1 :: v_dual_sub_f32 v60, v49, v27
	v_sub_f32_e32 v14, v47, v14
	v_dual_sub_f32 v58, v53, v28 :: v_dual_sub_f32 v63, v20, v10
	v_dual_sub_f32 v62, v55, v9 :: v_dual_sub_f32 v77, v24, v3
	v_fma_f32 v64, v48, 2.0, -v59
	v_sub_f32_e32 v68, v21, v11
	v_sub_f32_e32 v72, v22, v7
	v_sub_f32_e32 v76, v23, v2
	v_sub_f32_e32 v78, v25, v0
	v_add_nc_u32_e32 v48, 0x800, v109
	v_add_nc_u32_e32 v42, 0xc00, v109
	v_sub_f32_e32 v18, v52, v18
	v_sub_f32_e32 v71, v51, v6
	v_fma_f32 v65, v49, 2.0, -v60
	v_add_nc_u32_e32 v49, 0x200, v109
	v_add_nc_u32_e32 v44, 0x1000, v109
	v_fma_f32 v66, v54, 2.0, -v61
	v_fma_f32 v85, v46, 2.0, -v79
	v_add_nc_u32_e32 v54, 0x1400, v109
	v_add_nc_u32_e32 v46, 0x1c00, v109
	;; [unrolled: 1-line block ×3, first 2 shown]
	v_fma_f32 v86, v47, 2.0, -v14
	v_add_nc_u32_e32 v47, 0xe00, v109
	v_fma_f32 v57, v53, 2.0, -v58
	v_fma_f32 v67, v20, 2.0, -v63
	v_sub_f32_e32 v70, v50, v5
	v_fma_f32 v73, v21, 2.0, -v68
	v_fma_f32 v75, v22, 2.0, -v72
	;; [unrolled: 1-line block ×5, first 2 shown]
	global_wb scope:SCOPE_SE
	s_wait_dscnt 0x0
	s_barrier_signal -1
	s_barrier_wait -1
	global_inv scope:SCOPE_SE
	ds_load_2addr_b32 v[34:35], v109 offset1:56
	ds_load_2addr_b32 v[0:1], v49 offset0:96 offset1:152
	ds_load_2addr_b32 v[36:37], v48 offset0:48 offset1:104
	;; [unrolled: 1-line block ×12, first 2 shown]
	ds_load_2addr_b32 v[22:23], v46 offset1:56
	ds_load_2addr_b32 v[20:21], v56 offset0:192 offset1:248
	ds_load_2addr_b32 v[10:11], v47 offset0:112 offset1:168
	;; [unrolled: 1-line block ×3, first 2 shown]
	ds_load_b32 v53, v109 offset:7616
	v_fma_f32 v52, v52, 2.0, -v18
	v_fma_f32 v55, v55, 2.0, -v62
	;; [unrolled: 1-line block ×5, first 2 shown]
	global_wb scope:SCOPE_SE
	s_wait_dscnt 0x0
	s_barrier_signal -1
	s_barrier_wait -1
	global_inv scope:SCOPE_SE
	ds_store_2addr_b32 v121, v52, v18 offset1:28
	ds_store_2addr_b32 v123, v57, v58 offset1:28
	;; [unrolled: 1-line block ×17, first 2 shown]
	s_and_saveexec_b32 s1, s0
	s_cbranch_execz .LBB0_27
; %bb.26:
	v_mul_f32_e32 v14, v15, v81
	v_add_nc_u32_e32 v18, 0x1c00, v122
	s_delay_alu instid0(VALU_DEP_2) | instskip(NEXT) | instid1(VALU_DEP_1)
	v_fmac_f32_e32 v14, v19, v80
	v_sub_f32_e32 v14, v118, v14
	s_delay_alu instid0(VALU_DEP_1)
	v_fma_f32 v15, v118, 2.0, -v14
	ds_store_2addr_b32 v18, v15, v14 offset0:112 offset1:140
.LBB0_27:
	s_wait_alu 0xfffe
	s_or_b32 exec_lo, exec_lo, s1
	v_mul_u32_u24_e32 v14, 6, v108
	global_wb scope:SCOPE_SE
	s_wait_dscnt 0x0
	s_barrier_signal -1
	s_barrier_wait -1
	global_inv scope:SCOPE_SE
	v_lshlrev_b32_e32 v14, 3, v14
	v_lshrrev_b16 v15, 3, v112
	v_lshrrev_b16 v18, 3, v113
	s_clause 0x2
	global_load_b128 v[57:60], v14, s[8:9] offset:416
	global_load_b128 v[61:64], v14, s[8:9] offset:432
	;; [unrolled: 1-line block ×3, first 2 shown]
	v_lshrrev_b16 v14, 3, v111
	v_and_b32_e32 v15, 31, v15
	v_and_b32_e32 v18, 0xffff, v18
	s_delay_alu instid0(VALU_DEP_3) | instskip(NEXT) | instid1(VALU_DEP_3)
	v_and_b32_e32 v14, 31, v14
	v_mul_lo_u16 v15, v15, 37
	s_delay_alu instid0(VALU_DEP_1)
	v_lshrrev_b16 v15, 8, v15
	s_wait_loadcnt 0x2
	v_mul_f32_e32 v145, v1, v58
	s_wait_loadcnt 0x1
	v_mul_f32_e32 v151, v40, v64
	v_mul_lo_u16 v14, v14, 37
	s_wait_loadcnt 0x0
	v_mul_f32_e32 v155, v38, v68
	v_mul_f32_e32 v147, v36, v60
	;; [unrolled: 1-line block ×3, first 2 shown]
	v_lshrrev_b16 v14, 8, v14
	s_delay_alu instid0(VALU_DEP_1) | instskip(NEXT) | instid1(VALU_DEP_1)
	v_mul_lo_u16 v14, v14, 56
	v_sub_nc_u16 v14, v111, v14
	s_delay_alu instid0(VALU_DEP_1) | instskip(SKIP_2) | instid1(VALU_DEP_3)
	v_and_b32_e32 v52, 0xff, v14
	v_mul_lo_u16 v14, v15, 56
	v_mul_u32_u24_e32 v15, 0x2493, v18
	v_mul_u32_u24_e32 v18, 6, v52
	s_delay_alu instid0(VALU_DEP_3) | instskip(NEXT) | instid1(VALU_DEP_3)
	v_sub_nc_u16 v14, v112, v14
	v_lshrrev_b32_e32 v15, 16, v15
	s_delay_alu instid0(VALU_DEP_3) | instskip(NEXT) | instid1(VALU_DEP_3)
	v_lshlrev_b32_e32 v18, 3, v18
	v_and_b32_e32 v51, 0xff, v14
	s_delay_alu instid0(VALU_DEP_3)
	v_mul_lo_u16 v14, v15, 56
	s_clause 0x1
	global_load_b128 v[69:72], v18, s[8:9] offset:416
	global_load_b128 v[73:76], v18, s[8:9] offset:432
	v_sub_nc_u16 v14, v113, v14
	v_mul_u32_u24_e32 v15, 6, v51
	global_load_b128 v[77:80], v18, s[8:9] offset:448
	v_and_b32_e32 v50, 0xffff, v14
	v_lshlrev_b32_e32 v15, 3, v15
	s_delay_alu instid0(VALU_DEP_2)
	v_mul_u32_u24_e32 v14, 6, v50
	s_clause 0x1
	global_load_b128 v[81:84], v15, s[8:9] offset:416
	global_load_b128 v[85:88], v15, s[8:9] offset:432
	v_lshlrev_b32_e32 v14, 3, v14
	s_clause 0x3
	global_load_b128 v[89:92], v15, s[8:9] offset:448
	global_load_b128 v[93:96], v14, s[8:9] offset:416
	;; [unrolled: 1-line block ×4, first 2 shown]
	ds_load_2addr_b32 v[14:15], v49 offset0:96 offset1:152
	ds_load_2addr_b32 v[105:106], v48 offset0:48 offset1:104
	;; [unrolled: 1-line block ×3, first 2 shown]
	ds_load_2addr_b32 v[119:120], v109 offset1:56
	ds_load_2addr_b32 v[121:122], v44 offset0:96 offset1:152
	ds_load_2addr_b32 v[123:124], v54 offset0:64 offset1:120
	;; [unrolled: 1-line block ×9, first 2 shown]
	ds_load_2addr_b32 v[137:138], v46 offset1:56
	ds_load_2addr_b32 v[139:140], v56 offset0:192 offset1:248
	ds_load_2addr_b32 v[141:142], v47 offset0:112 offset1:168
	;; [unrolled: 1-line block ×3, first 2 shown]
	ds_load_b32 v55, v109 offset:7616
	global_wb scope:SCOPE_SE
	s_wait_loadcnt_dscnt 0x0
	s_barrier_signal -1
	v_dual_mul_f32 v107, v15, v58 :: v_dual_mul_f32 v146, v105, v60
	v_mul_f32_e32 v157, v106, v60
	v_mul_f32_e32 v60, v37, v60
	v_dual_fmac_f32 v151, v121, v63 :: v_dual_mul_f32 v148, v118, v62
	v_mul_f32_e32 v154, v125, v68
	v_dual_mul_f32 v156, v127, v58 :: v_dual_fmac_f32 v149, v118, v61
	v_mul_f32_e32 v58, v32, v58
	v_mul_f32_e32 v153, v5, v66
	;; [unrolled: 1-line block ×3, first 2 shown]
	v_dual_mul_f32 v152, v124, v66 :: v_dual_fmac_f32 v147, v105, v59
	v_mul_f32_e32 v161, v126, v68
	v_mul_f32_e32 v68, v39, v68
	v_fmac_f32_e32 v145, v15, v57
	v_dual_fmac_f32 v155, v125, v67 :: v_dual_mul_f32 v160, v131, v66
	v_fmac_f32_e32 v58, v127, v57
	v_dual_mul_f32 v158, v129, v62 :: v_dual_fmac_f32 v153, v124, v65
	v_mul_f32_e32 v62, v30, v62
	v_dual_mul_f32 v66, v24, v66 :: v_dual_mul_f32 v159, v122, v64
	v_fma_f32 v1, v1, v57, -v107
	v_fma_f32 v15, v36, v59, -v146
	;; [unrolled: 1-line block ×5, first 2 shown]
	v_mul_f32_e32 v64, v41, v64
	v_fma_f32 v38, v38, v67, -v154
	v_fma_f32 v32, v32, v57, -v156
	;; [unrolled: 1-line block ×3, first 2 shown]
	v_fmac_f32_e32 v60, v106, v59
	v_fma_f32 v30, v30, v61, -v158
	v_fmac_f32_e32 v62, v129, v61
	v_fma_f32 v39, v39, v67, -v161
	v_fmac_f32_e32 v68, v126, v67
	v_add_f32_e32 v57, v145, v155
	v_fma_f32 v24, v24, v65, -v160
	v_add_f32_e32 v61, v147, v153
	v_dual_fmac_f32 v66, v131, v65 :: v_dual_add_f32 v65, v149, v151
	v_fma_f32 v40, v41, v63, -v159
	v_add_f32_e32 v41, v1, v38
	v_sub_f32_e32 v1, v1, v38
	v_dual_sub_f32 v38, v145, v155 :: v_dual_add_f32 v59, v15, v5
	v_dual_fmac_f32 v64, v122, v63 :: v_dual_sub_f32 v5, v15, v5
	v_sub_f32_e32 v15, v147, v153
	v_add_f32_e32 v63, v7, v36
	v_dual_sub_f32 v7, v36, v7 :: v_dual_sub_f32 v36, v151, v149
	v_add_f32_e32 v67, v32, v39
	v_dual_add_f32 v105, v58, v68 :: v_dual_sub_f32 v32, v32, v39
	v_dual_sub_f32 v39, v58, v68 :: v_dual_add_f32 v68, v60, v66
	v_add_f32_e32 v58, v37, v24
	v_dual_sub_f32 v24, v37, v24 :: v_dual_sub_f32 v37, v60, v66
	v_dual_add_f32 v60, v30, v40 :: v_dual_sub_f32 v107, v61, v57
	v_add_f32_e32 v66, v62, v64
	v_sub_f32_e32 v30, v40, v30
	v_sub_f32_e32 v40, v64, v62
	v_dual_add_f32 v62, v59, v41 :: v_dual_add_f32 v121, v36, v15
	v_add_f32_e32 v64, v61, v57
	v_dual_sub_f32 v106, v59, v41 :: v_dual_sub_f32 v41, v41, v63
	v_sub_f32_e32 v57, v57, v65
	v_sub_f32_e32 v59, v63, v59
	v_dual_sub_f32 v61, v65, v61 :: v_dual_sub_f32 v124, v36, v15
	v_dual_add_f32 v118, v7, v5 :: v_dual_add_f32 v125, v58, v67
	v_dual_sub_f32 v122, v7, v5 :: v_dual_sub_f32 v127, v58, v67
	v_dual_sub_f32 v36, v38, v36 :: v_dual_sub_f32 v5, v5, v1
	v_dual_sub_f32 v15, v15, v38 :: v_dual_add_f32 v126, v68, v105
	v_sub_f32_e32 v67, v67, v60
	v_sub_f32_e32 v7, v1, v7
	v_dual_sub_f32 v129, v68, v105 :: v_dual_sub_f32 v68, v66, v68
	v_dual_sub_f32 v105, v105, v66 :: v_dual_sub_f32 v146, v30, v24
	v_dual_sub_f32 v58, v60, v58 :: v_dual_add_f32 v131, v30, v24
	v_add_f32_e32 v145, v40, v37
	v_dual_sub_f32 v147, v40, v37 :: v_dual_add_f32 v62, v63, v62
	v_dual_sub_f32 v30, v32, v30 :: v_dual_sub_f32 v37, v37, v39
	v_dual_sub_f32 v24, v24, v32 :: v_dual_mul_f32 v41, 0x3f4a47b2, v41
	v_dual_add_f32 v63, v65, v64 :: v_dual_add_f32 v64, v118, v1
	v_dual_add_f32 v38, v121, v38 :: v_dual_mul_f32 v57, 0x3f4a47b2, v57
	v_dual_mul_f32 v65, 0x3d64c772, v59 :: v_dual_mul_f32 v118, 0x3d64c772, v61
	v_dual_mul_f32 v121, 0xbf08b237, v122 :: v_dual_mul_f32 v122, 0xbf08b237, v124
	v_mul_f32_e32 v124, 0x3f5ff5aa, v5
	v_mul_f32_e32 v148, 0x3f5ff5aa, v15
	v_dual_add_f32 v60, v60, v125 :: v_dual_mul_f32 v67, 0x3f4a47b2, v67
	v_dual_add_f32 v66, v66, v126 :: v_dual_mul_f32 v105, 0x3f4a47b2, v105
	v_sub_f32_e32 v40, v39, v40
	v_dual_add_f32 v32, v131, v32 :: v_dual_mul_f32 v125, 0x3d64c772, v58
	v_dual_add_f32 v39, v145, v39 :: v_dual_mul_f32 v126, 0x3d64c772, v68
	v_add_f32_e32 v1, v119, v63
	v_mul_f32_e32 v131, 0xbf08b237, v146
	v_dual_mul_f32 v145, 0xbf08b237, v147 :: v_dual_add_f32 v34, v34, v62
	v_dual_mul_f32 v146, 0x3f5ff5aa, v24 :: v_dual_add_f32 v119, v120, v66
	v_mul_f32_e32 v147, 0x3f5ff5aa, v37
	v_fmamk_f32 v59, v59, 0x3d64c772, v41
	v_fmamk_f32 v61, v61, 0x3d64c772, v57
	v_fma_f32 v65, 0x3f3bfb3b, v106, -v65
	v_fma_f32 v118, 0x3f3bfb3b, v107, -v118
	;; [unrolled: 1-line block ×4, first 2 shown]
	v_dual_fmamk_f32 v106, v7, 0x3eae86e6, v121 :: v_dual_fmamk_f32 v107, v36, 0x3eae86e6, v122
	v_fma_f32 v5, 0x3f5ff5aa, v5, -v121
	v_fma_f32 v15, 0x3f5ff5aa, v15, -v122
	;; [unrolled: 1-line block ×4, first 2 shown]
	v_dual_add_f32 v35, v35, v60 :: v_dual_fmamk_f32 v58, v58, 0x3d64c772, v67
	v_fma_f32 v120, 0x3f3bfb3b, v127, -v125
	v_fma_f32 v67, 0xbf3bfb3b, v127, -v67
	v_fmamk_f32 v124, v40, 0x3eae86e6, v145
	v_fma_f32 v37, 0x3f5ff5aa, v37, -v145
	v_fma_f32 v40, 0xbeae86e6, v40, -v147
	v_dual_fmamk_f32 v62, v62, 0xbf955555, v34 :: v_dual_fmamk_f32 v63, v63, 0xbf955555, v1
	v_dual_fmac_f32 v106, 0x3ee1c552, v64 :: v_dual_fmac_f32 v107, 0x3ee1c552, v38
	v_dual_fmac_f32 v5, 0x3ee1c552, v64 :: v_dual_fmac_f32 v36, 0x3ee1c552, v38
	v_fmamk_f32 v68, v68, 0x3d64c772, v105
	v_fma_f32 v121, 0x3f3bfb3b, v129, -v126
	v_fmac_f32_e32 v40, 0x3ee1c552, v39
	v_fma_f32 v105, 0xbf3bfb3b, v129, -v105
	s_barrier_wait -1
	global_inv scope:SCOPE_SE
	v_add_f32_e32 v65, v65, v62
	v_add_f32_e32 v41, v41, v62
	;; [unrolled: 1-line block ×3, first 2 shown]
	v_fmac_f32_e32 v37, 0x3ee1c552, v39
	v_dual_mul_f32 v125, v132, v78 :: v_dual_mul_f32 v126, v137, v80
	v_mul_f32_e32 v80, v22, v80
	v_mul_f32_e32 v78, v25, v78
	s_delay_alu instid0(VALU_DEP_3)
	v_fma_f32 v25, v25, v77, -v125
	v_mul_f32_e32 v127, v139, v82
	v_dual_fmac_f32 v7, 0x3ee1c552, v64 :: v_dual_fmac_f32 v124, 0x3ee1c552, v39
	v_mul_f32_e32 v64, v133, v72
	v_fmamk_f32 v122, v30, 0x3eae86e6, v131
	v_fma_f32 v24, 0x3f5ff5aa, v24, -v131
	v_fma_f32 v30, 0xbeae86e6, v30, -v146
	v_fmac_f32_e32 v15, 0x3ee1c552, v38
	v_dual_fmamk_f32 v38, v60, 0xbf955555, v35 :: v_dual_mul_f32 v129, v134, v84
	v_dual_fmamk_f32 v60, v66, 0xbf955555, v119 :: v_dual_mul_f32 v131, v141, v86
	v_mul_f32_e32 v66, v28, v72
	v_fmac_f32_e32 v122, 0x3ee1c552, v32
	v_dual_fmac_f32 v24, 0x3ee1c552, v32 :: v_dual_mul_f32 v39, v33, v70
	v_fmac_f32_e32 v30, 0x3ee1c552, v32
	v_mul_f32_e32 v32, v128, v70
	v_mul_f32_e32 v70, v130, v74
	v_dual_mul_f32 v72, v31, v74 :: v_dual_mul_f32 v147, v138, v92
	v_mul_f32_e32 v74, v135, v76
	v_dual_mul_f32 v76, v26, v76 :: v_dual_add_f32 v59, v59, v62
	v_mul_f32_e32 v145, v136, v88
	v_mul_f32_e32 v88, v27, v88
	v_fma_f32 v28, v28, v71, -v64
	v_dual_fmac_f32 v66, v133, v71 :: v_dual_mul_f32 v71, v142, v98
	v_dual_mul_f32 v82, v20, v82 :: v_dual_add_f32 v61, v61, v63
	v_mul_f32_e32 v86, v10, v86
	v_mul_f32_e32 v146, v143, v90
	v_fma_f32 v32, v33, v69, -v32
	v_dual_mul_f32 v33, v23, v92 :: v_dual_mul_f32 v92, v140, v94
	v_fmac_f32_e32 v39, v128, v69
	v_mul_f32_e32 v69, v21, v94
	v_mul_f32_e32 v94, v117, v96
	;; [unrolled: 1-line block ×5, first 2 shown]
	v_fma_f32 v31, v31, v73, -v70
	v_mul_f32_e32 v70, v4, v100
	v_mul_f32_e32 v100, v144, v102
	;; [unrolled: 1-line block ×3, first 2 shown]
	v_add_f32_e32 v58, v58, v38
	v_fma_f32 v11, v11, v97, -v71
	v_dual_add_f32 v71, v36, v41 :: v_dual_sub_f32 v36, v41, v36
	v_sub_f32_e32 v41, v59, v107
	v_add_f32_e32 v102, v118, v63
	v_add_f32_e32 v118, v120, v38
	v_dual_add_f32 v38, v67, v38 :: v_dual_mul_f32 v67, v53, v104
	v_dual_mul_f32 v84, v29, v84 :: v_dual_fmac_f32 v33, v138, v91
	v_dual_mul_f32 v90, v8, v90 :: v_dual_mul_f32 v63, v55, v104
	s_delay_alu instid0(VALU_DEP_3)
	v_fmac_f32_e32 v67, v55, v103
	v_fma_f32 v22, v22, v79, -v126
	v_fmac_f32_e32 v80, v137, v79
	v_add_f32_e32 v55, v107, v59
	v_dual_add_f32 v59, v106, v61 :: v_dual_add_f32 v68, v68, v60
	v_sub_f32_e32 v79, v118, v37
	v_add_f32_e32 v37, v37, v118
	v_add_f32_e32 v104, v121, v60
	;; [unrolled: 1-line block ×3, first 2 shown]
	v_fma_f32 v26, v26, v75, -v74
	v_fma_f32 v20, v20, v81, -v127
	;; [unrolled: 1-line block ×3, first 2 shown]
	v_fmac_f32_e32 v84, v134, v83
	v_fma_f32 v53, v53, v103, -v63
	v_sub_f32_e32 v63, v61, v106
	v_dual_sub_f32 v74, v65, v15 :: v_dual_add_f32 v15, v15, v65
	v_dual_sub_f32 v61, v68, v122 :: v_dual_fmac_f32 v76, v135, v75
	v_dual_add_f32 v65, v40, v38 :: v_dual_fmac_f32 v72, v130, v73
	v_dual_fmac_f32 v82, v139, v81 :: v_dual_add_f32 v81, v24, v104
	v_sub_f32_e32 v83, v104, v24
	v_sub_f32_e32 v24, v38, v40
	v_add_f32_e32 v38, v32, v22
	v_add_f32_e32 v40, v39, v80
	v_sub_f32_e32 v22, v32, v22
	v_dual_sub_f32 v32, v39, v80 :: v_dual_add_f32 v39, v28, v25
	v_fmac_f32_e32 v78, v132, v77
	v_fma_f32 v8, v8, v89, -v146
	v_fma_f32 v23, v23, v91, -v147
	v_dual_fmac_f32 v64, v117, v95 :: v_dual_sub_f32 v25, v28, v25
	v_sub_f32_e32 v73, v57, v7
	v_add_f32_e32 v7, v7, v57
	v_add_f32_e32 v57, v124, v58
	v_dual_sub_f32 v77, v60, v30 :: v_dual_add_f32 v60, v30, v60
	v_sub_f32_e32 v30, v58, v124
	v_add_f32_e32 v58, v122, v68
	v_add_f32_e32 v68, v66, v78
	v_sub_f32_e32 v28, v66, v78
	v_add_f32_e32 v66, v31, v26
	v_sub_f32_e32 v26, v26, v31
	v_fma_f32 v27, v27, v87, -v145
	v_fmac_f32_e32 v88, v136, v87
	v_fmac_f32_e32 v70, v123, v99
	;; [unrolled: 1-line block ×3, first 2 shown]
	v_add_f32_e32 v87, v26, v25
	v_sub_f32_e32 v91, v26, v25
	v_sub_f32_e32 v25, v25, v22
	v_dual_sub_f32 v26, v22, v26 :: v_dual_sub_f32 v31, v76, v72
	s_delay_alu instid0(VALU_DEP_3) | instskip(SKIP_1) | instid1(VALU_DEP_4)
	v_dual_add_f32 v22, v87, v22 :: v_dual_mul_f32 v87, 0xbf08b237, v91
	v_add_f32_e32 v78, v72, v76
	v_dual_add_f32 v72, v39, v38 :: v_dual_mul_f32 v91, 0x3f5ff5aa, v25
	v_fmac_f32_e32 v90, v143, v89
	s_delay_alu instid0(VALU_DEP_4)
	v_fma_f32 v25, 0x3f5ff5aa, v25, -v87
	v_fma_f32 v21, v21, v93, -v92
	v_dual_fmac_f32 v96, v142, v97 :: v_dual_add_f32 v89, v31, v28
	v_sub_f32_e32 v80, v39, v38
	v_sub_f32_e32 v38, v38, v66
	v_dual_sub_f32 v39, v66, v39 :: v_dual_sub_f32 v92, v31, v28
	v_dual_add_f32 v66, v66, v72 :: v_dual_fmac_f32 v25, 0x3ee1c552, v22
	v_add_f32_e32 v76, v68, v40
	v_sub_f32_e32 v31, v32, v31
	v_sub_f32_e32 v28, v28, v32
	v_add_f32_e32 v32, v89, v32
	v_mul_f32_e32 v89, 0xbf08b237, v92
	v_add_f32_e32 v72, v78, v76
	v_mul_f32_e32 v76, 0x3d64c772, v39
	v_add_f32_e32 v2, v2, v66
	v_mul_f32_e32 v92, 0x3f5ff5aa, v28
	v_fma_f32 v28, 0x3f5ff5aa, v28, -v89
	v_fmac_f32_e32 v69, v140, v93
	v_fma_f32 v76, 0x3f3bfb3b, v80, -v76
	v_fmamk_f32 v66, v66, 0xbf955555, v2
	v_fma_f32 v6, v6, v95, -v94
	v_add_f32_e32 v75, v5, v102
	v_sub_f32_e32 v5, v102, v5
	v_fma_f32 v9, v9, v101, -v100
	v_mul_f32_e32 v38, 0x3f4a47b2, v38
	v_add_f32_e32 v76, v76, v66
	v_fmac_f32_e32 v28, 0x3ee1c552, v32
	v_fma_f32 v10, v10, v85, -v131
	s_delay_alu instid0(VALU_DEP_4) | instskip(SKIP_1) | instid1(VALU_DEP_4)
	v_dual_add_f32 v18, v18, v72 :: v_dual_fmamk_f32 v39, v39, 0x3d64c772, v38
	v_fma_f32 v38, 0xbf3bfb3b, v80, -v38
	v_dual_fmamk_f32 v80, v26, 0x3eae86e6, v87 :: v_dual_sub_f32 v87, v76, v28
	v_dual_fmac_f32 v86, v141, v85 :: v_dual_sub_f32 v85, v68, v40
	v_sub_f32_e32 v40, v40, v78
	v_sub_f32_e32 v68, v78, v68
	v_fmamk_f32 v72, v72, 0xbf955555, v18
	v_fma_f32 v26, 0xbeae86e6, v26, -v91
	s_delay_alu instid0(VALU_DEP_4) | instskip(NEXT) | instid1(VALU_DEP_4)
	v_dual_add_f32 v39, v39, v66 :: v_dual_mul_f32 v40, 0x3f4a47b2, v40
	v_mul_f32_e32 v78, 0x3d64c772, v68
	v_add_f32_e32 v38, v38, v66
	s_delay_alu instid0(VALU_DEP_4)
	v_fmac_f32_e32 v26, 0x3ee1c552, v22
	v_fmac_f32_e32 v80, 0x3ee1c552, v22
	v_fmamk_f32 v68, v68, 0x3d64c772, v40
	v_fma_f32 v78, 0x3f3bfb3b, v85, -v78
	v_fma_f32 v40, 0xbf3bfb3b, v85, -v40
	v_fmamk_f32 v85, v31, 0x3eae86e6, v89
	v_fma_f32 v31, 0xbeae86e6, v31, -v92
	v_add_f32_e32 v68, v68, v72
	v_add_f32_e32 v78, v78, v72
	;; [unrolled: 1-line block ×3, first 2 shown]
	v_fmac_f32_e32 v85, 0x3ee1c552, v32
	v_fmac_f32_e32 v31, 0x3ee1c552, v32
	s_delay_alu instid0(VALU_DEP_4) | instskip(NEXT) | instid1(VALU_DEP_4)
	v_dual_add_f32 v28, v28, v76 :: v_dual_add_f32 v89, v25, v78
	v_sub_f32_e32 v72, v40, v26
	s_delay_alu instid0(VALU_DEP_4) | instskip(NEXT) | instid1(VALU_DEP_4)
	v_add_f32_e32 v22, v85, v39
	v_add_f32_e32 v32, v31, v38
	v_sub_f32_e32 v76, v78, v25
	v_sub_f32_e32 v25, v38, v31
	v_add_f32_e32 v78, v26, v40
	v_dual_sub_f32 v26, v39, v85 :: v_dual_add_f32 v31, v20, v23
	v_add_f32_e32 v38, v82, v33
	v_dual_sub_f32 v20, v20, v23 :: v_dual_sub_f32 v23, v82, v33
	v_add_f32_e32 v33, v29, v8
	v_add_f32_e32 v39, v84, v90
	v_sub_f32_e32 v66, v68, v80
	v_add_f32_e32 v68, v80, v68
	v_dual_sub_f32 v8, v29, v8 :: v_dual_sub_f32 v29, v84, v90
	v_add_f32_e32 v40, v10, v27
	v_add_f32_e32 v80, v86, v88
	v_sub_f32_e32 v10, v27, v10
	v_dual_sub_f32 v27, v88, v86 :: v_dual_add_f32 v82, v33, v31
	v_dual_add_f32 v84, v39, v38 :: v_dual_sub_f32 v85, v33, v31
	v_sub_f32_e32 v86, v39, v38
	v_sub_f32_e32 v31, v31, v40
	v_dual_sub_f32 v38, v38, v80 :: v_dual_sub_f32 v33, v40, v33
	v_dual_sub_f32 v39, v80, v39 :: v_dual_add_f32 v88, v10, v8
	v_dual_add_f32 v90, v27, v29 :: v_dual_sub_f32 v91, v10, v8
	v_sub_f32_e32 v92, v27, v29
	v_sub_f32_e32 v8, v8, v20
	v_add_f32_e32 v40, v40, v82
	v_dual_add_f32 v80, v80, v84 :: v_dual_sub_f32 v29, v29, v23
	v_dual_sub_f32 v10, v20, v10 :: v_dual_sub_f32 v27, v23, v27
	v_dual_add_f32 v20, v88, v20 :: v_dual_add_f32 v23, v90, v23
	s_delay_alu instid0(VALU_DEP_4) | instskip(NEXT) | instid1(VALU_DEP_4)
	v_add_f32_e32 v3, v3, v40
	v_add_f32_e32 v19, v19, v80
	v_dual_mul_f32 v31, 0x3f4a47b2, v31 :: v_dual_mul_f32 v38, 0x3f4a47b2, v38
	v_mul_f32_e32 v82, 0x3d64c772, v33
	v_mul_f32_e32 v88, 0xbf08b237, v91
	;; [unrolled: 1-line block ×6, first 2 shown]
	v_fmamk_f32 v40, v40, 0xbf955555, v3
	v_fmamk_f32 v80, v80, 0xbf955555, v19
	;; [unrolled: 1-line block ×4, first 2 shown]
	v_fma_f32 v82, 0x3f3bfb3b, v85, -v82
	v_fma_f32 v31, 0xbf3bfb3b, v85, -v31
	;; [unrolled: 1-line block ×3, first 2 shown]
	v_fmamk_f32 v85, v10, 0x3eae86e6, v88
	v_fma_f32 v29, 0x3f5ff5aa, v29, -v90
	v_fma_f32 v10, 0xbeae86e6, v10, -v91
	;; [unrolled: 1-line block ×3, first 2 shown]
	v_fmamk_f32 v86, v27, 0x3eae86e6, v90
	v_fma_f32 v27, 0xbeae86e6, v27, -v92
	v_add_f32_e32 v39, v39, v80
	v_add_f32_e32 v82, v82, v40
	;; [unrolled: 1-line block ×3, first 2 shown]
	v_fmac_f32_e32 v85, 0x3ee1c552, v20
	v_dual_fmac_f32 v10, 0x3ee1c552, v20 :: v_dual_fmac_f32 v29, 0x3ee1c552, v23
	v_fma_f32 v8, 0x3f5ff5aa, v8, -v88
	v_add_f32_e32 v33, v33, v40
	v_dual_add_f32 v31, v31, v40 :: v_dual_fmac_f32 v86, 0x3ee1c552, v23
	v_fmac_f32_e32 v27, 0x3ee1c552, v23
	v_fma_f32 v4, v4, v99, -v98
	v_add_f32_e32 v84, v84, v80
	v_sub_f32_e32 v80, v39, v85
	v_sub_f32_e32 v88, v38, v10
	v_dual_sub_f32 v40, v82, v29 :: v_dual_add_f32 v29, v29, v82
	v_add_f32_e32 v10, v10, v38
	v_add_f32_e32 v82, v85, v39
	;; [unrolled: 1-line block ×3, first 2 shown]
	v_sub_f32_e32 v39, v69, v67
	v_dual_add_f32 v67, v64, v62 :: v_dual_fmac_f32 v8, 0x3ee1c552, v20
	v_add_f32_e32 v23, v27, v31
	v_sub_f32_e32 v27, v31, v27
	v_sub_f32_e32 v31, v33, v86
	ds_store_2addr_b32 v109, v34, v55 offset1:56
	ds_store_2addr_b32 v109, v71, v74 offset0:112 offset1:168
	v_lshl_add_u32 v71, v50, 2, 0
	v_add_f32_e32 v20, v86, v33
	v_add_f32_e32 v33, v21, v53
	v_sub_f32_e32 v21, v21, v53
	v_add_f32_e32 v53, v6, v9
	v_dual_sub_f32 v6, v6, v9 :: v_dual_sub_f32 v9, v64, v62
	v_add_f32_e32 v62, v11, v4
	v_add_f32_e32 v64, v96, v70
	v_dual_sub_f32 v4, v4, v11 :: v_dual_sub_f32 v11, v70, v96
	v_dual_add_f32 v70, v67, v38 :: v_dual_add_f32 v69, v53, v33
	s_delay_alu instid0(VALU_DEP_3) | instskip(SKIP_1) | instid1(VALU_DEP_4)
	v_dual_sub_f32 v85, v67, v38 :: v_dual_sub_f32 v38, v38, v64
	v_sub_f32_e32 v67, v64, v67
	v_add_f32_e32 v86, v4, v6
	v_sub_f32_e32 v92, v4, v6
	v_add_f32_e32 v64, v64, v70
	v_add_f32_e32 v90, v8, v84
	v_sub_f32_e32 v8, v84, v8
	v_sub_f32_e32 v84, v53, v33
	;; [unrolled: 1-line block ×4, first 2 shown]
	v_add_f32_e32 v91, v11, v9
	v_sub_f32_e32 v93, v11, v9
	v_add_f32_e32 v62, v62, v69
	v_sub_f32_e32 v4, v21, v4
	v_sub_f32_e32 v6, v6, v21
	v_add_f32_e32 v21, v86, v21
	v_add_f32_e32 v14, v14, v64
	v_mul_f32_e32 v70, 0x3d64c772, v67
	v_dual_mul_f32 v86, 0xbf08b237, v92 :: v_dual_sub_f32 v11, v39, v11
	v_sub_f32_e32 v9, v9, v39
	v_dual_add_f32 v39, v91, v39 :: v_dual_add_f32 v0, v0, v62
	v_mul_f32_e32 v69, 0x3d64c772, v53
	v_mul_f32_e32 v91, 0xbf08b237, v93
	;; [unrolled: 1-line block ×3, first 2 shown]
	v_fmamk_f32 v64, v64, 0xbf955555, v14
	v_fma_f32 v70, 0x3f3bfb3b, v85, -v70
	v_fma_f32 v6, 0x3f5ff5aa, v6, -v86
	v_mul_f32_e32 v93, 0x3f5ff5aa, v9
	v_fmamk_f32 v62, v62, 0xbf955555, v0
	v_fma_f32 v69, 0x3f3bfb3b, v84, -v69
	v_fma_f32 v9, 0x3f5ff5aa, v9, -v91
	v_mul_f32_e32 v38, 0x3f4a47b2, v38
	v_add_f32_e32 v70, v70, v64
	v_fmac_f32_e32 v6, 0x3ee1c552, v21
	v_mul_f32_e32 v33, 0x3f4a47b2, v33
	v_add_f32_e32 v69, v69, v62
	v_fmac_f32_e32 v9, 0x3ee1c552, v39
	v_fmamk_f32 v67, v67, 0x3d64c772, v38
	v_fma_f32 v38, 0xbf3bfb3b, v85, -v38
	v_fmamk_f32 v85, v11, 0x3eae86e6, v91
	v_add_f32_e32 v91, v6, v70
	v_sub_f32_e32 v6, v70, v6
	v_add_nc_u32_e32 v70, 0x600, v109
	v_fmamk_f32 v53, v53, 0x3d64c772, v33
	v_fma_f32 v33, 0xbf3bfb3b, v84, -v33
	v_fmamk_f32 v84, v4, 0x3eae86e6, v86
	v_sub_f32_e32 v86, v69, v9
	v_add_f32_e32 v9, v9, v69
	v_lshl_add_u32 v69, v52, 2, 0
	v_fma_f32 v11, 0xbeae86e6, v11, -v93
	ds_store_2addr_b32 v49, v15, v36 offset0:96 offset1:152
	ds_store_2addr_b32 v56, v41, v35 offset0:80 offset1:136
	ds_store_b32 v116, v57
	ds_store_2addr_b32 v70, v65, v79 offset0:120 offset1:176
	ds_store_2addr_b32 v48, v37, v24 offset0:104 offset1:160
	v_lshl_add_u32 v65, v51, 2, 0
	v_fma_f32 v4, 0xbeae86e6, v4, -v92
	v_add_nc_u32_e32 v15, 0xc00, v69
	v_add_f32_e32 v53, v53, v62
	v_dual_add_f32 v67, v67, v64 :: v_dual_fmac_f32 v84, 0x3ee1c552, v21
	v_fmac_f32_e32 v85, 0x3ee1c552, v39
	v_add_f32_e32 v33, v33, v62
	v_fmac_f32_e32 v11, 0x3ee1c552, v39
	v_add_nc_u32_e32 v74, 0x1000, v65
	v_add_f32_e32 v38, v38, v64
	v_fmac_f32_e32 v4, 0x3ee1c552, v21
	ds_store_b32 v109, v30 offset:2912
	ds_store_2addr_b32 v15, v2, v22 offset0:16 offset1:72
	v_add_nc_u32_e32 v2, 0xe00, v69
	v_add_nc_u32_e32 v79, 0x1400, v65
	v_dual_add_f32 v21, v85, v53 :: v_dual_sub_f32 v62, v67, v84
	v_add_f32_e32 v67, v84, v67
	v_dual_add_f32 v39, v11, v33 :: v_dual_add_nc_u32 v84, 0x1800, v71
	v_sub_f32_e32 v11, v33, v11
	v_sub_f32_e32 v33, v53, v85
	ds_store_2addr_b32 v74, v3, v20 offset0:152 offset1:208
	v_dual_sub_f32 v64, v38, v4 :: v_dual_add_nc_u32 v3, 0x1c00, v71
	v_add_f32_e32 v4, v4, v38
	ds_store_2addr_b32 v15, v32, v87 offset0:128 offset1:184
	ds_store_2addr_b32 v2, v28, v25 offset0:112 offset1:168
	;; [unrolled: 1-line block ×6, first 2 shown]
	ds_store_2addr_b32 v3, v9, v11 offset1:56
	ds_store_b32 v69, v26 offset:4480
	ds_store_b32 v65, v31 offset:6048
	;; [unrolled: 1-line block ×3, first 2 shown]
	global_wb scope:SCOPE_SE
	s_wait_dscnt 0x0
	s_barrier_signal -1
	s_barrier_wait -1
	global_inv scope:SCOPE_SE
	ds_load_2addr_b32 v[20:21], v109 offset1:56
	ds_load_2addr_b32 v[24:25], v56 offset0:80 offset1:136
	ds_load_2addr_b32 v[26:27], v42 offset0:16 offset1:72
	;; [unrolled: 1-line block ×13, first 2 shown]
	ds_load_2addr_b32 v[46:47], v46 offset1:56
	ds_load_2addr_b32 v[52:53], v48 offset0:160 offset1:216
	ds_load_2addr_b32 v[54:55], v54 offset0:176 offset1:232
	ds_load_b32 v57, v109 offset:7616
	global_wb scope:SCOPE_SE
	s_wait_dscnt 0x0
	s_barrier_signal -1
	s_barrier_wait -1
	global_inv scope:SCOPE_SE
	ds_store_2addr_b32 v109, v1, v63 offset1:56
	ds_store_2addr_b32 v109, v73, v75 offset0:112 offset1:168
	ds_store_2addr_b32 v49, v5, v7 offset0:96 offset1:152
	;; [unrolled: 1-line block ×3, first 2 shown]
	ds_store_b32 v116, v61
	ds_store_2addr_b32 v70, v77, v81 offset0:120 offset1:176
	ds_store_2addr_b32 v48, v83, v60 offset0:104 offset1:160
	ds_store_b32 v109, v58 offset:2912
	ds_store_2addr_b32 v15, v18, v66 offset0:16 offset1:72
	ds_store_2addr_b32 v15, v72, v89 offset0:128 offset1:184
	;; [unrolled: 1-line block ×8, first 2 shown]
	ds_store_2addr_b32 v3, v6, v4 offset1:56
	ds_store_b32 v69, v68 offset:4480
	ds_store_b32 v65, v82 offset:6048
	ds_store_b32 v71, v67 offset:7616
	global_wb scope:SCOPE_SE
	s_wait_dscnt 0x0
	s_barrier_signal -1
	s_barrier_wait -1
	global_inv scope:SCOPE_SE
	s_and_saveexec_b32 s0, vcc_lo
	s_cbranch_execz .LBB0_29
; %bb.28:
	v_dual_mov_b32 v19, 0 :: v_dual_lshlrev_b32 v18, 2, v115
	v_lshlrev_b32_e32 v2, 2, v114
	v_lshlrev_b32_e32 v10, 2, v113
	;; [unrolled: 1-line block ×3, first 2 shown]
	v_mul_lo_u32 v56, s3, v12
	v_mov_b32_e32 v15, v19
	v_lshlrev_b64_e32 v[0:1], 3, v[18:19]
	v_mov_b32_e32 v3, v19
	v_mov_b32_e32 v11, v19
	v_mad_co_u64_u32 v[48:49], null, s2, v12, 0
	v_mul_lo_u32 v66, s2, v13
	v_add_co_u32 v0, vcc_lo, s8, v0
	s_wait_alu 0xfffd
	v_add_co_ci_u32_e32 v1, vcc_lo, s9, v1, vcc_lo
	v_lshlrev_b64_e32 v[8:9], 3, v[2:3]
	s_clause 0x1
	global_load_b128 v[4:7], v[0:1], off offset:3104
	global_load_b128 v[0:3], v[0:1], off offset:3120
	v_lshlrev_b64_e32 v[10:11], 3, v[10:11]
	v_add_nc_u32_e32 v67, 0x1000, v109
	v_add_co_u32 v8, vcc_lo, s8, v8
	s_wait_alu 0xfffd
	v_add_co_ci_u32_e32 v9, vcc_lo, s9, v9, vcc_lo
	s_delay_alu instid0(VALU_DEP_4)
	v_add_co_u32 v10, vcc_lo, s8, v10
	s_wait_alu 0xfffd
	v_add_co_ci_u32_e32 v11, vcc_lo, s9, v11, vcc_lo
	s_clause 0x1
	global_load_b128 v[58:61], v[8:9], off offset:3104
	global_load_b128 v[62:65], v[8:9], off offset:3120
	v_lshlrev_b64_e32 v[8:9], 3, v[14:15]
	s_clause 0x1
	global_load_b128 v[71:74], v[10:11], off offset:3120
	global_load_b128 v[80:83], v[10:11], off offset:3104
	v_add_nc_u32_e32 v94, 0x1400, v109
	v_add_nc_u32_e32 v93, 0xe00, v109
	v_lshlrev_b32_e32 v92, 2, v110
	v_add_nc_u32_e32 v96, 0x1c00, v109
	v_add_co_u32 v8, vcc_lo, s8, v8
	s_wait_alu 0xfffd
	v_add_co_ci_u32_e32 v9, vcc_lo, s9, v9, vcc_lo
	s_clause 0x1
	global_load_b128 v[84:87], v[8:9], off offset:3104
	global_load_b128 v[88:91], v[8:9], off offset:3120
	v_dual_mov_b32 v9, v19 :: v_dual_lshlrev_b32 v8, 2, v111
	ds_load_b32 v132, v109 offset:7616
	v_add_nc_u32_e32 v76, 0x800, v109
	v_add_nc_u32_e32 v95, 0x400, v109
	v_lshlrev_b32_e32 v75, 2, v108
	v_lshlrev_b64_e32 v[8:9], 3, v[8:9]
	v_add3_u32 v49, v49, v66, v56
	v_lshlrev_b64_e32 v[16:17], 3, v[16:17]
	s_delay_alu instid0(VALU_DEP_3) | instskip(SKIP_1) | instid1(VALU_DEP_4)
	v_add_co_u32 v12, vcc_lo, s8, v8
	s_wait_alu 0xfffd
	v_add_co_ci_u32_e32 v13, vcc_lo, s9, v9, vcc_lo
	s_clause 0x1
	global_load_b128 v[8:11], v[12:13], off offset:3120
	global_load_b128 v[12:15], v[12:13], off offset:3104
	ds_load_2addr_b32 v[77:78], v109 offset0:112 offset1:168
	ds_load_2addr_b32 v[110:111], v76 offset0:160 offset1:216
	;; [unrolled: 1-line block ×6, first 2 shown]
	ds_load_2addr_b32 v[116:117], v96 offset1:56
	v_add_nc_u32_e32 v97, 0x200, v109
	v_mov_b32_e32 v93, v19
	v_add_nc_u32_e32 v79, 0xc00, v109
	v_add_nc_u32_e32 v98, 0x1200, v109
	;; [unrolled: 1-line block ×3, first 2 shown]
	v_lshlrev_b64_e32 v[48:49], 3, v[48:49]
	v_lshlrev_b64_e32 v[92:93], 3, v[92:93]
	s_delay_alu instid0(VALU_DEP_1)
	v_add_co_u32 v96, vcc_lo, s8, v92
	s_wait_loadcnt_dscnt 0x905
	v_mul_f32_e32 v56, v4, v111
	v_mul_f32_e32 v111, v5, v111
	ds_load_2addr_b32 v[118:119], v97 offset0:96 offset1:152
	ds_load_2addr_b32 v[120:121], v76 offset0:48 offset1:104
	ds_load_2addr_b32 v[122:123], v94 offset0:64 offset1:120
	v_mov_b32_e32 v76, v19
	s_wait_alu 0xfffd
	v_add_co_ci_u32_e32 v97, vcc_lo, s9, v93, vcc_lo
	ds_load_2addr_b32 v[124:125], v79 offset0:128 offset1:184
	ds_load_2addr_b32 v[126:127], v18 offset0:144 offset1:200
	;; [unrolled: 1-line block ×4, first 2 shown]
	v_lshlrev_b64_e32 v[75:76], 3, v[75:76]
	s_wait_dscnt 0xb
	v_mul_f32_e32 v66, v6, v69
	v_mul_f32_e32 v69, v7, v69
	v_fmac_f32_e32 v56, v53, v5
	s_delay_alu instid0(VALU_DEP_4)
	v_add_co_u32 v75, vcc_lo, s8, v75
	s_wait_alu 0xfffd
	v_add_co_ci_u32_e32 v76, vcc_lo, s9, v76, vcc_lo
	s_clause 0x3
	global_load_b128 v[92:95], v[96:97], off offset:3120
	global_load_b128 v[96:99], v[96:97], off offset:3104
	;; [unrolled: 1-line block ×4, first 2 shown]
	s_wait_loadcnt_dscnt 0xc0a
	v_dual_mul_f32 v75, v2, v132 :: v_dual_mul_f32 v76, v0, v113
	v_dual_mul_f32 v113, v1, v113 :: v_dual_mul_f32 v132, v3, v132
	v_fma_f32 v5, v28, v6, -v69
	s_delay_alu instid0(VALU_DEP_3)
	v_fmac_f32_e32 v75, v57, v3
	s_wait_loadcnt 0xb
	v_mul_f32_e32 v3, v59, v110
	v_fmac_f32_e32 v76, v55, v1
	v_fma_f32 v6, v55, v0, -v113
	v_fma_f32 v0, v53, v4, -v111
	s_wait_dscnt 0x8
	v_dual_mul_f32 v4, v58, v110 :: v_dual_mul_f32 v53, v60, v115
	v_mul_f32_e32 v1, v61, v115
	v_fmac_f32_e32 v66, v28, v7
	v_fma_f32 v28, v57, v2, -v132
	s_wait_loadcnt_dscnt 0xa07
	v_mul_f32_e32 v69, v64, v117
	v_mul_f32_e32 v111, v62, v112
	;; [unrolled: 1-line block ×3, first 2 shown]
	s_wait_loadcnt 0x9
	v_mul_f32_e32 v112, v73, v116
	v_dual_mul_f32 v7, v65, v117 :: v_dual_mul_f32 v116, v74, v116
	s_wait_loadcnt_dscnt 0x602
	v_dual_mul_f32 v55, v80, v121 :: v_dual_mul_f32 v132, v90, v127
	v_dual_mul_f32 v110, v82, v114 :: v_dual_mul_f32 v113, v71, v123
	;; [unrolled: 1-line block ×3, first 2 shown]
	v_mul_f32_e32 v115, v81, v121
	v_mul_f32_e32 v117, v86, v125
	;; [unrolled: 1-line block ×3, first 2 shown]
	v_dual_mul_f32 v123, v88, v122 :: v_dual_sub_f32 v142, v66, v76
	v_dual_mul_f32 v120, v85, v120 :: v_dual_mul_f32 v127, v91, v127
	v_sub_f32_e32 v136, v0, v28
	v_dual_mul_f32 v122, v89, v122 :: v_dual_sub_f32 v147, v6, v28
	v_fmac_f32_e32 v4, v52, v59
	v_dual_add_f32 v148, v0, v28 :: v_dual_fmac_f32 v53, v51, v61
	v_dual_mul_f32 v125, v87, v125 :: v_dual_add_f32 v140, v5, v6
	v_dual_sub_f32 v133, v56, v66 :: v_dual_sub_f32 v146, v5, v0
	v_dual_sub_f32 v134, v75, v76 :: v_dual_sub_f32 v135, v5, v6
	v_dual_sub_f32 v138, v0, v5 :: v_dual_add_f32 v137, v66, v76
	v_sub_f32_e32 v144, v76, v75
	v_dual_sub_f32 v139, v28, v6 :: v_dual_fmac_f32 v110, v50, v83
	v_dual_sub_f32 v141, v56, v75 :: v_dual_fmac_f32 v112, v46, v74
	v_sub_f32_e32 v143, v66, v56
	v_add_f32_e32 v145, v56, v75
	v_add_f32_e32 v56, v56, v67
	v_dual_add_f32 v149, v24, v0 :: v_dual_fmac_f32 v132, v39, v91
	v_fmac_f32_e32 v69, v47, v65
	v_fmac_f32_e32 v111, v54, v63
	v_fma_f32 v51, v51, v60, -v1
	v_fma_f32 v59, v54, v62, -v2
	;; [unrolled: 1-line block ×4, first 2 shown]
	v_fmac_f32_e32 v55, v45, v81
	v_fma_f32 v47, v50, v82, -v57
	v_fma_f32 v63, v43, v71, -v114
	v_fma_f32 v7, v45, v80, -v115
	v_fma_f32 v80, v46, v73, -v116
	v_dual_fmac_f32 v121, v44, v85 :: v_dual_sub_f32 v50, v62, v59
	v_dual_fmac_f32 v123, v42, v89 :: v_dual_sub_f32 v46, v52, v51
	v_fma_f32 v81, v39, v90, -v127
	v_fma_f32 v82, v42, v88, -v122
	v_dual_sub_f32 v42, v4, v53 :: v_dual_fmac_f32 v113, v43, v72
	v_fma_f32 v43, v44, v84, -v120
	v_dual_fmac_f32 v117, v37, v87 :: v_dual_sub_f32 v88, v52, v62
	v_fma_f32 v37, v37, v86, -v125
	v_dual_add_f32 v83, v133, v134 :: v_dual_add_f32 v54, v51, v59
	v_fma_f32 v1, -0.5, v137, v67
	v_add_f32_e32 v84, v138, v139
	v_fma_f32 v0, -0.5, v140, v24
	v_dual_add_f32 v85, v143, v144 :: v_dual_sub_f32 v90, v53, v111
	v_add_f32_e32 v86, v146, v147
	v_fma_f32 v2, -0.5, v148, v24
	v_add_f32_e32 v24, v66, v56
	v_fma_f32 v3, -0.5, v145, v67
	v_dual_add_f32 v39, v149, v5 :: v_dual_sub_f32 v60, v51, v52
	v_sub_f32_e32 v44, v69, v111
	v_dual_sub_f32 v87, v51, v59 :: v_dual_sub_f32 v56, v53, v4
	v_sub_f32_e32 v89, v4, v69
	v_dual_sub_f32 v57, v111, v69 :: v_dual_add_f32 v64, v52, v62
	v_dual_add_f32 v65, v4, v119 :: v_dual_sub_f32 v66, v55, v110
	v_dual_add_f32 v52, v41, v52 :: v_dual_add_f32 v71, v110, v113
	v_sub_f32_e32 v72, v7, v47
	v_dual_add_f32 v125, v55, v112 :: v_dual_add_f32 v138, v40, v7
	v_dual_sub_f32 v127, v47, v7 :: v_dual_add_f32 v144, v121, v132
	v_dual_sub_f32 v133, v63, v80 :: v_dual_sub_f32 v146, v37, v43
	v_dual_add_f32 v148, v43, v81 :: v_dual_sub_f32 v149, v117, v123
	v_dual_add_f32 v45, v53, v111 :: v_dual_add_f32 v58, v4, v69
	v_dual_sub_f32 v67, v112, v113 :: v_dual_sub_f32 v114, v7, v80
	v_dual_sub_f32 v91, v47, v63 :: v_dual_sub_f32 v122, v113, v112
	v_dual_sub_f32 v73, v80, v63 :: v_dual_add_f32 v134, v7, v80
	v_dual_add_f32 v74, v47, v63 :: v_dual_sub_f32 v139, v117, v121
	v_dual_sub_f32 v115, v55, v112 :: v_dual_sub_f32 v120, v110, v55
	v_dual_add_f32 v137, v55, v118 :: v_dual_sub_f32 v150, v121, v132
	v_dual_sub_f32 v140, v123, v132 :: v_dual_sub_f32 v145, v37, v82
	v_dual_sub_f32 v147, v82, v81 :: v_dual_add_f32 v156, v37, v82
	v_dual_sub_f32 v151, v121, v117 :: v_dual_add_f32 v24, v76, v24
	v_dual_add_f32 v153, v117, v123 :: v_dual_sub_f32 v154, v43, v37
	v_add_f32_e32 v121, v121, v78
	v_dual_add_f32 v157, v35, v43 :: v_dual_fmamk_f32 v4, v141, 0xbf737871, v0
	v_dual_fmamk_f32 v5, v136, 0x3f737871, v1 :: v_dual_add_f32 v76, v42, v44
	v_dual_add_f32 v39, v39, v6 :: v_dual_add_f32 v52, v52, v51
	v_fmamk_f32 v7, v135, 0xbf737871, v3
	v_dual_fmac_f32 v3, 0x3f737871, v135 :: v_dual_add_f32 v158, v46, v50
	v_fmac_f32_e32 v0, 0x3f737871, v141
	v_fma_f32 v42, -0.5, v54, v41
	v_add_f32_e32 v159, v56, v57
	v_fma_f32 v44, -0.5, v64, v41
	v_dual_add_f32 v41, v53, v65 :: v_dual_add_f32 v120, v120, v122
	v_fma_f32 v55, -0.5, v71, v118
	v_fma_f32 v57, -0.5, v125, v118
	v_dual_add_f32 v118, v127, v133 :: v_dual_add_f32 v71, v138, v47
	v_fma_f32 v65, -0.5, v144, v78
	v_fma_f32 v64, -0.5, v148, v35
	v_dual_sub_f32 v61, v59, v62 :: v_dual_sub_f32 v116, v110, v113
	v_dual_sub_f32 v143, v43, v81 :: v_dual_sub_f32 v152, v132, v123
	v_dual_sub_f32 v155, v81, v82 :: v_dual_fmamk_f32 v6, v142, 0x3f737871, v2
	v_dual_fmac_f32 v2, 0xbf737871, v142 :: v_dual_fmac_f32 v1, 0xbf737871, v136
	v_add_f32_e32 v160, v66, v67
	v_fma_f32 v43, -0.5, v45, v119
	v_add_f32_e32 v161, v72, v73
	v_fma_f32 v54, -0.5, v74, v40
	v_fma_f32 v56, -0.5, v134, v40
	v_dual_add_f32 v53, v110, v137 :: v_dual_fmac_f32 v4, 0xbf167918, v142
	v_fma_f32 v67, -0.5, v153, v78
	v_fma_f32 v66, -0.5, v156, v35
	v_dual_add_f32 v35, v117, v121 :: v_dual_add_f32 v40, v75, v24
	v_dual_add_f32 v37, v37, v157 :: v_dual_fmac_f32 v0, 0x3f167918, v142
	v_dual_fmac_f32 v7, 0x3f167918, v136 :: v_dual_add_f32 v24, v111, v41
	v_fmac_f32_e32 v3, 0xbf167918, v136
	v_dual_add_f32 v39, v28, v39 :: v_dual_fmamk_f32 v46, v89, 0xbf737871, v42
	v_dual_add_f32 v28, v52, v59 :: v_dual_fmamk_f32 v59, v114, 0x3f737871, v55
	v_fmac_f32_e32 v55, 0xbf737871, v114
	v_dual_add_f32 v75, v71, v63 :: v_dual_fmamk_f32 v72, v145, 0xbf737871, v65
	v_fmamk_f32 v71, v149, 0x3f737871, v64
	v_fmac_f32_e32 v65, 0x3f737871, v145
	v_fmac_f32_e32 v64, 0xbf737871, v149
	v_fma_f32 v45, -0.5, v58, v119
	v_dual_add_f32 v119, v60, v61 :: v_dual_add_f32 v122, v146, v147
	v_dual_add_f32 v110, v139, v140 :: v_dual_fmamk_f32 v47, v88, 0x3f737871, v43
	v_fmamk_f32 v50, v90, 0x3f737871, v44
	v_dual_fmac_f32 v43, 0xbf737871, v88 :: v_dual_fmamk_f32 v58, v115, 0xbf737871, v54
	v_fmamk_f32 v61, v91, 0xbf737871, v57
	v_dual_fmac_f32 v57, 0x3f737871, v91 :: v_dual_add_f32 v52, v62, v28
	v_dual_fmac_f32 v54, 0x3f737871, v115 :: v_dual_add_f32 v41, v113, v53
	v_dual_fmamk_f32 v74, v143, 0xbf737871, v67 :: v_dual_add_f32 v53, v69, v24
	s_wait_loadcnt_dscnt 0x401
	v_dual_fmamk_f32 v73, v150, 0x3f737871, v66 :: v_dual_mul_f32 v28, v12, v129
	v_fmac_f32_e32 v64, 0x3f167918, v150
	v_dual_add_f32 v24, v37, v82 :: v_dual_fmac_f32 v65, 0xbf167918, v143
	v_add_f32_e32 v78, v154, v155
	s_delay_alu instid0(VALU_DEP_4)
	v_fmac_f32_e32 v28, v31, v13
	v_dual_add_f32 v63, v112, v41 :: v_dual_fmac_f32 v72, 0x3f167918, v143
	v_dual_add_f32 v62, v80, v75 :: v_dual_fmac_f32 v73, 0x3f167918, v149
	v_fmac_f32_e32 v65, 0x3e9e377a, v110
	v_dual_fmac_f32 v64, 0x3e9e377a, v122 :: v_dual_mul_f32 v41, v14, v124
	v_dual_add_f32 v75, v24, v81 :: v_dual_fmac_f32 v66, 0xbf737871, v150
	s_wait_dscnt 0x0
	v_dual_mul_f32 v24, v8, v131 :: v_dual_fmac_f32 v73, 0x3e9e377a, v78
	s_delay_alu instid0(VALU_DEP_3) | instskip(SKIP_1) | instid1(VALU_DEP_3)
	v_fmac_f32_e32 v41, v36, v15
	v_dual_fmamk_f32 v51, v87, 0xbf737871, v45 :: v_dual_fmac_f32 v44, 0xbf737871, v90
	v_fmac_f32_e32 v24, v33, v9
	v_dual_fmac_f32 v66, 0xbf167918, v149 :: v_dual_mul_f32 v9, v9, v131
	v_dual_fmac_f32 v42, 0x3f737871, v89 :: v_dual_fmac_f32 v45, 0x3f737871, v87
	v_dual_add_f32 v35, v123, v35 :: v_dual_fmac_f32 v4, 0x3e9e377a, v84
	s_delay_alu instid0(VALU_DEP_2)
	v_dual_fmac_f32 v47, 0x3f167918, v87 :: v_dual_fmac_f32 v42, 0x3f167918, v90
	v_dual_fmac_f32 v50, 0xbf167918, v89 :: v_dual_fmac_f32 v43, 0xbf167918, v87
	v_mul_f32_e32 v69, v10, v126
	v_fmac_f32_e32 v66, 0x3e9e377a, v78
	v_fma_f32 v82, v33, v8, -v9
	v_dual_sub_f32 v8, v28, v41 :: v_dual_mul_f32 v15, v15, v124
	v_dual_fmac_f32 v51, 0x3f167918, v88 :: v_dual_fmac_f32 v44, 0x3f167918, v89
	v_fmac_f32_e32 v71, 0xbf167918, v150
	v_dual_fmac_f32 v47, 0x3e9e377a, v76 :: v_dual_fmac_f32 v50, 0x3e9e377a, v119
	s_delay_alu instid0(VALU_DEP_3)
	v_dual_fmac_f32 v43, 0x3e9e377a, v76 :: v_dual_fmac_f32 v44, 0x3e9e377a, v119
	v_add_f32_e32 v76, v132, v35
	v_fma_f32 v81, v36, v14, -v15
	v_fmac_f32_e32 v69, v38, v11
	v_mul_f32_e32 v35, v11, v126
	v_fmac_f32_e32 v67, 0x3f737871, v143
	v_dual_fmac_f32 v3, 0x3e9e377a, v85 :: v_dual_fmac_f32 v0, 0x3e9e377a, v84
	s_delay_alu instid0(VALU_DEP_4) | instskip(NEXT) | instid1(VALU_DEP_4)
	v_sub_f32_e32 v78, v28, v69
	v_fma_f32 v80, v38, v10, -v35
	s_delay_alu instid0(VALU_DEP_4) | instskip(SKIP_2) | instid1(VALU_DEP_3)
	v_dual_add_f32 v10, v41, v24 :: v_dual_fmac_f32 v67, 0x3f167918, v145
	v_dual_fmac_f32 v5, 0x3f167918, v135 :: v_dual_fmac_f32 v2, 0x3f167918, v141
	v_dual_fmac_f32 v1, 0xbf167918, v135 :: v_dual_fmac_f32 v46, 0xbf167918, v90
	v_fma_f32 v9, -0.5, v10, v77
	v_sub_f32_e32 v10, v69, v24
	v_mul_f32_e32 v13, v13, v129
	v_dual_add_f32 v125, v151, v152 :: v_dual_fmac_f32 v6, 0xbf167918, v141
	s_delay_alu instid0(VALU_DEP_3) | instskip(NEXT) | instid1(VALU_DEP_3)
	v_dual_fmac_f32 v5, 0x3e9e377a, v83 :: v_dual_add_f32 v84, v8, v10
	v_fma_f32 v31, v31, v12, -v13
	v_add_f32_e32 v12, v81, v82
	s_delay_alu instid0(VALU_DEP_4) | instskip(SKIP_1) | instid1(VALU_DEP_4)
	v_dual_fmac_f32 v6, 0x3e9e377a, v86 :: v_dual_fmac_f32 v1, 0x3e9e377a, v83
	v_fmac_f32_e32 v46, 0x3e9e377a, v158
	v_sub_f32_e32 v14, v31, v81
	v_sub_f32_e32 v33, v31, v80
	v_fma_f32 v8, -0.5, v12, v34
	v_dual_add_f32 v12, v28, v69 :: v_dual_sub_f32 v83, v81, v82
	v_dual_fmac_f32 v7, 0x3e9e377a, v85 :: v_dual_fmac_f32 v2, 0x3e9e377a, v86
	s_delay_alu instid0(VALU_DEP_4) | instskip(NEXT) | instid1(VALU_DEP_4)
	v_fmamk_f32 v11, v33, 0x3f737871, v9
	v_fmamk_f32 v10, v78, 0xbf737871, v8
	s_delay_alu instid0(VALU_DEP_4)
	v_fma_f32 v13, -0.5, v12, v77
	v_add_f32_e32 v12, v31, v80
	v_sub_f32_e32 v85, v41, v24
	v_dual_fmac_f32 v11, 0x3f167918, v83 :: v_dual_sub_f32 v38, v82, v80
	v_sub_f32_e32 v35, v80, v82
	v_dual_fmac_f32 v67, 0x3e9e377a, v125 :: v_dual_sub_f32 v36, v41, v28
	s_delay_alu instid0(VALU_DEP_4) | instskip(NEXT) | instid1(VALU_DEP_3)
	v_fmac_f32_e32 v10, 0xbf167918, v85
	v_dual_fmac_f32 v11, 0x3e9e377a, v84 :: v_dual_add_f32 v86, v14, v35
	v_fma_f32 v12, -0.5, v12, v34
	v_fmac_f32_e32 v8, 0x3f737871, v78
	v_fmac_f32_e32 v9, 0xbf737871, v33
	v_fmamk_f32 v60, v116, 0x3f737871, v56
	v_dual_fmac_f32 v10, 0x3e9e377a, v86 :: v_dual_sub_f32 v37, v24, v69
	v_fmamk_f32 v14, v85, 0x3f737871, v12
	v_dual_fmamk_f32 v15, v83, 0xbf737871, v13 :: v_dual_fmac_f32 v12, 0xbf737871, v85
	v_fmac_f32_e32 v8, 0x3f167918, v85
	s_delay_alu instid0(VALU_DEP_3)
	v_dual_add_f32 v87, v36, v37 :: v_dual_fmac_f32 v14, 0xbf167918, v78
	v_sub_f32_e32 v37, v81, v31
	ds_load_2addr_b32 v[35:36], v79 offset0:16 offset1:72
	v_dual_fmac_f32 v15, 0x3f167918, v33 :: v_dual_fmac_f32 v12, 0x3f167918, v78
	v_fmac_f32_e32 v8, 0x3e9e377a, v86
	v_add_f32_e32 v79, v37, v38
	ds_load_2addr_b32 v[37:38], v18 offset0:32 offset1:88
	v_dual_fmac_f32 v15, 0x3e9e377a, v87 :: v_dual_add_f32 v18, v28, v77
	v_fmac_f32_e32 v13, 0x3f737871, v83
	v_add_f32_e32 v28, v34, v31
	v_fmac_f32_e32 v9, 0xbf167918, v83
	v_fmac_f32_e32 v12, 0x3e9e377a, v79
	s_wait_loadcnt 0x2
	v_dual_add_f32 v18, v41, v18 :: v_dual_mul_f32 v41, v96, v128
	v_fmac_f32_e32 v13, 0xbf167918, v33
	v_add_f32_e32 v28, v28, v81
	ds_load_2addr_b32 v[33:34], v109 offset1:56
	v_dual_add_f32 v18, v24, v18 :: v_dual_fmac_f32 v41, v30, v97
	v_dual_fmac_f32 v14, 0x3e9e377a, v79 :: v_dual_fmac_f32 v9, 0x3e9e377a, v84
	s_wait_dscnt 0x2
	s_delay_alu instid0(VALU_DEP_2) | instskip(SKIP_3) | instid1(VALU_DEP_3)
	v_dual_mul_f32 v83, v98, v36 :: v_dual_add_f32 v24, v69, v18
	v_add_f32_e32 v18, v28, v82
	s_wait_dscnt 0x1
	v_dual_mul_f32 v28, v99, v36 :: v_dual_mul_f32 v81, v94, v38
	v_dual_fmac_f32 v83, v27, v99 :: v_dual_mul_f32 v36, v93, v130
	v_mul_f32_e32 v38, v95, v38
	s_delay_alu instid0(VALU_DEP_3) | instskip(SKIP_1) | instid1(VALU_DEP_4)
	v_fma_f32 v82, v27, v98, -v28
	v_mul_f32_e32 v69, v92, v130
	v_sub_f32_e32 v31, v41, v83
	v_mul_f32_e32 v77, v97, v128
	v_fma_f32 v38, v23, v94, -v38
	v_fmac_f32_e32 v13, 0x3e9e377a, v87
	v_fmac_f32_e32 v69, v32, v93
	v_fma_f32 v32, v32, v92, -v36
	v_fma_f32 v36, v30, v96, -v77
	v_fmac_f32_e32 v81, v23, v95
	v_add_f32_e32 v23, v80, v18
	v_dual_fmac_f32 v45, 0xbf167918, v88 :: v_dual_fmac_f32 v60, 0xbf167918, v115
	s_delay_alu instid0(VALU_DEP_4)
	v_dual_add_f32 v77, v82, v32 :: v_dual_sub_f32 v18, v36, v38
	v_dual_sub_f32 v78, v38, v32 :: v_dual_add_f32 v27, v83, v69
	v_add_f32_e32 v80, v36, v38
	v_sub_f32_e32 v30, v81, v69
	v_dual_sub_f32 v86, v82, v32 :: v_dual_add_f32 v79, v41, v81
	s_wait_dscnt 0x0
	v_fma_f32 v28, -0.5, v27, v34
	v_fma_f32 v27, -0.5, v77, v21
	v_dual_sub_f32 v77, v36, v82 :: v_dual_sub_f32 v90, v69, v81
	s_delay_alu instid0(VALU_DEP_3) | instskip(SKIP_1) | instid1(VALU_DEP_3)
	v_dual_add_f32 v84, v31, v30 :: v_dual_fmamk_f32 v31, v18, 0x3f737871, v28
	v_dual_fmac_f32 v59, 0x3f167918, v91 :: v_dual_fmac_f32 v54, 0x3f167918, v116
	v_add_f32_e32 v88, v77, v78
	v_fma_f32 v78, -0.5, v79, v34
	v_dual_fmac_f32 v55, 0xbf167918, v91 :: v_dual_fmac_f32 v74, 0xbf167918, v145
	v_dual_sub_f32 v87, v83, v69 :: v_dual_sub_f32 v92, v32, v38
	v_sub_f32_e32 v85, v41, v81
	v_fma_f32 v77, -0.5, v80, v21
	v_fmamk_f32 v80, v86, 0xbf737871, v78
	v_dual_sub_f32 v91, v82, v36 :: v_dual_fmac_f32 v78, 0x3f737871, v86
	s_delay_alu instid0(VALU_DEP_4) | instskip(NEXT) | instid1(VALU_DEP_3)
	v_dual_fmamk_f32 v30, v85, 0xbf737871, v27 :: v_dual_sub_f32 v89, v83, v41
	v_fmac_f32_e32 v80, 0x3f167918, v18
	v_fmamk_f32 v79, v87, 0x3f737871, v77
	s_delay_alu instid0(VALU_DEP_4) | instskip(SKIP_2) | instid1(VALU_DEP_4)
	v_dual_fmac_f32 v78, 0xbf167918, v18 :: v_dual_add_f32 v21, v21, v36
	v_dual_fmac_f32 v77, 0xbf737871, v87 :: v_dual_fmac_f32 v28, 0xbf737871, v18
	v_add_f32_e32 v18, v41, v34
	v_dual_fmac_f32 v30, 0xbf167918, v87 :: v_dual_fmac_f32 v79, 0xbf167918, v85
	s_delay_alu instid0(VALU_DEP_3) | instskip(NEXT) | instid1(VALU_DEP_4)
	v_fmac_f32_e32 v77, 0x3f167918, v85
	v_fmac_f32_e32 v28, 0xbf167918, v86
	s_delay_alu instid0(VALU_DEP_4)
	v_dual_add_f32 v18, v83, v18 :: v_dual_fmac_f32 v27, 0x3f737871, v85
	v_add_f32_e32 v21, v21, v82
	v_fmac_f32_e32 v31, 0x3f167918, v86
	v_dual_add_f32 v89, v89, v90 :: v_dual_fmac_f32 v30, 0x3e9e377a, v88
	v_add_f32_e32 v90, v91, v92
	v_fmac_f32_e32 v28, 0x3e9e377a, v84
	v_dual_add_f32 v18, v69, v18 :: v_dual_fmac_f32 v27, 0x3f167918, v87
	v_add_f32_e32 v21, v21, v32
	s_wait_loadcnt 0x0
	v_dual_fmac_f32 v77, 0x3e9e377a, v90 :: v_dual_mul_f32 v32, v104, v68
	s_delay_alu instid0(VALU_DEP_3) | instskip(SKIP_3) | instid1(VALU_DEP_4)
	v_dual_mul_f32 v41, v106, v35 :: v_dual_add_f32 v82, v81, v18
	v_dual_fmac_f32 v27, 0x3e9e377a, v88 :: v_dual_mul_f32 v18, v102, v37
	v_dual_add_f32 v81, v38, v21 :: v_dual_mul_f32 v34, v101, v70
	v_mul_f32_e32 v38, v100, v70
	v_dual_fmac_f32 v32, v25, v105 :: v_dual_fmac_f32 v41, v26, v107
	v_mul_f32_e32 v36, v103, v37
	s_delay_alu instid0(VALU_DEP_3) | instskip(SKIP_2) | instid1(VALU_DEP_3)
	v_dual_mul_f32 v21, v107, v35 :: v_dual_fmac_f32 v38, v29, v101
	v_dual_mul_f32 v35, v105, v68 :: v_dual_fmac_f32 v18, v22, v103
	v_fma_f32 v29, v29, v100, -v34
	v_fma_f32 v68, v26, v106, -v21
	;; [unrolled: 1-line block ×3, first 2 shown]
	s_delay_alu instid0(VALU_DEP_4) | instskip(SKIP_3) | instid1(VALU_DEP_3)
	v_fma_f32 v69, v25, v104, -v35
	v_dual_add_f32 v21, v41, v38 :: v_dual_sub_f32 v34, v32, v41
	v_sub_f32_e32 v35, v18, v38
	v_dual_fmac_f32 v31, 0x3e9e377a, v84 :: v_dual_fmac_f32 v80, 0x3e9e377a, v89
	v_fma_f32 v22, -0.5, v21, v33
	v_sub_f32_e32 v36, v69, v68
	s_delay_alu instid0(VALU_DEP_4) | instskip(SKIP_2) | instid1(VALU_DEP_3)
	v_dual_sub_f32 v83, v69, v70 :: v_dual_add_f32 v88, v34, v35
	v_add_f32_e32 v25, v68, v29
	v_dual_sub_f32 v84, v32, v18 :: v_dual_sub_f32 v37, v70, v29
	v_dual_sub_f32 v85, v68, v29 :: v_dual_fmamk_f32 v26, v83, 0x3f737871, v22
	s_delay_alu instid0(VALU_DEP_3) | instskip(SKIP_1) | instid1(VALU_DEP_4)
	v_fma_f32 v21, -0.5, v25, v20
	v_dual_fmac_f32 v79, 0x3e9e377a, v90 :: v_dual_fmac_f32 v78, 0x3e9e377a, v89
	v_dual_add_f32 v89, v36, v37 :: v_dual_sub_f32 v36, v41, v32
	s_delay_alu instid0(VALU_DEP_3) | instskip(SKIP_3) | instid1(VALU_DEP_4)
	v_dual_fmamk_f32 v25, v84, 0xbf737871, v21 :: v_dual_add_f32 v34, v69, v70
	v_dual_sub_f32 v87, v41, v38 :: v_dual_fmac_f32 v26, 0x3f167918, v85
	v_add_f32_e32 v86, v32, v18
	v_sub_f32_e32 v90, v68, v69
	v_fma_f32 v34, -0.5, v34, v20
	s_delay_alu instid0(VALU_DEP_4) | instskip(SKIP_3) | instid1(VALU_DEP_4)
	v_fmac_f32_e32 v25, 0xbf167918, v87
	v_sub_f32_e32 v91, v29, v70
	v_fma_f32 v35, -0.5, v86, v33
	v_dual_sub_f32 v86, v38, v18 :: v_dual_fmac_f32 v21, 0x3f737871, v84
	v_dual_fmac_f32 v26, 0x3e9e377a, v88 :: v_dual_fmac_f32 v25, 0x3e9e377a, v89
	s_delay_alu instid0(VALU_DEP_2) | instskip(SKIP_3) | instid1(VALU_DEP_4)
	v_dual_fmamk_f32 v37, v85, 0x3f737871, v35 :: v_dual_add_f32 v86, v36, v86
	v_fmamk_f32 v36, v87, 0xbf737871, v34
	v_add_f32_e32 v90, v90, v91
	v_fmac_f32_e32 v21, 0x3f167918, v87
	v_dual_fmac_f32 v37, 0xbf167918, v83 :: v_dual_add_f32 v32, v32, v33
	s_delay_alu instid0(VALU_DEP_4) | instskip(SKIP_1) | instid1(VALU_DEP_3)
	v_fmac_f32_e32 v36, 0x3f167918, v84
	v_fmac_f32_e32 v35, 0xbf737871, v85
	v_dual_add_f32 v20, v20, v69 :: v_dual_fmac_f32 v37, 0x3e9e377a, v86
	s_delay_alu instid0(VALU_DEP_4) | instskip(SKIP_1) | instid1(VALU_DEP_3)
	v_add_f32_e32 v32, v41, v32
	v_mul_hi_u32 v41, 0x5397829d, v108
	v_dual_fmac_f32 v35, 0x3f167918, v83 :: v_dual_add_f32 v20, v20, v68
	s_delay_alu instid0(VALU_DEP_3) | instskip(SKIP_2) | instid1(VALU_DEP_4)
	v_dual_fmac_f32 v21, 0x3e9e377a, v89 :: v_dual_add_f32 v32, v38, v32
	v_fmac_f32_e32 v22, 0xbf737871, v83
	v_fmac_f32_e32 v34, 0x3f737871, v87
	v_add_f32_e32 v20, v20, v29
	s_delay_alu instid0(VALU_DEP_4)
	v_dual_fmac_f32 v36, 0x3e9e377a, v90 :: v_dual_add_f32 v33, v18, v32
	v_lshrrev_b32_e32 v32, 7, v41
	v_add_nc_u32_e32 v18, 56, v108
	v_fmac_f32_e32 v22, 0xbf167918, v85
	v_fmac_f32_e32 v34, 0xbf167918, v84
	;; [unrolled: 1-line block ×3, first 2 shown]
	v_mul_u32_u24_e32 v38, 0x188, v32
	v_mul_hi_u32 v29, 0x5397829d, v18
	v_add_f32_e32 v32, v70, v20
	v_fmac_f32_e32 v22, 0x3e9e377a, v88
	v_fmac_f32_e32 v34, 0x3e9e377a, v90
	v_sub_nc_u32_e32 v20, v108, v38
	v_add_co_u32 v38, vcc_lo, s6, v48
	s_wait_alu 0xfffd
	v_add_co_ci_u32_e32 v41, vcc_lo, s7, v49, vcc_lo
	s_delay_alu instid0(VALU_DEP_3) | instskip(NEXT) | instid1(VALU_DEP_3)
	v_lshlrev_b32_e32 v20, 3, v20
	v_add_co_u32 v38, vcc_lo, v38, v16
	v_lshrrev_b32_e32 v29, 7, v29
	s_wait_alu 0xfffd
	v_add_co_ci_u32_e32 v41, vcc_lo, v41, v17, vcc_lo
	s_delay_alu instid0(VALU_DEP_3) | instskip(NEXT) | instid1(VALU_DEP_3)
	v_add_co_u32 v16, vcc_lo, v38, v20
	v_mul_u32_u24_e32 v48, 0x188, v29
	s_wait_alu 0xfffd
	s_delay_alu instid0(VALU_DEP_3)
	v_add_co_ci_u32_e32 v17, vcc_lo, 0, v41, vcc_lo
	s_clause 0x4
	global_store_b64 v[16:17], v[32:33], off
	global_store_b64 v[16:17], v[21:22], off offset:3136
	global_store_b64 v[16:17], v[36:37], off offset:6272
	;; [unrolled: 1-line block ×4, first 2 shown]
	v_sub_nc_u32_e32 v18, v18, v48
	v_dual_mov_b32 v21, v19 :: v_dual_add_nc_u32 v22, 0x70, v108
	v_dual_mov_b32 v26, v19 :: v_dual_mov_b32 v33, v19
	s_delay_alu instid0(VALU_DEP_3) | instskip(NEXT) | instid1(VALU_DEP_3)
	v_mad_u32_u24 v18, 0x7a8, v29, v18
	v_mul_hi_u32 v29, 0x5397829d, v22
	v_dual_fmac_f32 v71, 0x3e9e377a, v122 :: v_dual_fmac_f32 v74, 0x3e9e377a, v125
	v_dual_fmac_f32 v55, 0x3e9e377a, v160 :: v_dual_fmac_f32 v72, 0x3e9e377a, v110
	s_delay_alu instid0(VALU_DEP_4)
	v_add_nc_u32_e32 v20, 0x188, v18
	v_lshlrev_b64_e32 v[16:17], 3, v[18:19]
	v_add_nc_u32_e32 v25, 0x310, v18
	v_add_nc_u32_e32 v32, 0x498, v18
	v_add_nc_u32_e32 v18, 0x620, v18
	v_lshrrev_b32_e32 v29, 7, v29
	v_lshlrev_b64_e32 v[20:21], 3, v[20:21]
	v_add_co_u32 v16, vcc_lo, v38, v16
	v_lshlrev_b64_e32 v[25:26], 3, v[25:26]
	v_lshlrev_b64_e32 v[34:35], 3, v[18:19]
	v_mul_u32_u24_e32 v18, 0x188, v29
	s_wait_alu 0xfffd
	v_add_co_ci_u32_e32 v17, vcc_lo, v41, v17, vcc_lo
	v_add_co_u32 v20, vcc_lo, v38, v20
	v_lshlrev_b64_e32 v[32:33], 3, v[32:33]
	s_wait_alu 0xfffd
	v_add_co_ci_u32_e32 v21, vcc_lo, v41, v21, vcc_lo
	v_sub_nc_u32_e32 v18, v22, v18
	v_add_co_u32 v25, vcc_lo, v38, v25
	s_wait_alu 0xfffd
	v_add_co_ci_u32_e32 v26, vcc_lo, v41, v26, vcc_lo
	v_add_co_u32 v32, vcc_lo, v38, v32
	v_mad_u32_u24 v18, 0x7a8, v29, v18
	s_wait_alu 0xfffd
	v_add_co_ci_u32_e32 v33, vcc_lo, v41, v33, vcc_lo
	v_add_co_u32 v34, vcc_lo, v38, v34
	s_wait_alu 0xfffd
	v_add_co_ci_u32_e32 v35, vcc_lo, v41, v35, vcc_lo
	s_clause 0x4
	global_store_b64 v[16:17], v[81:82], off
	global_store_b64 v[20:21], v[27:28], off
	global_store_b64 v[25:26], v[77:78], off
	global_store_b64 v[32:33], v[79:80], off
	global_store_b64 v[34:35], v[30:31], off
	v_dual_mov_b32 v21, v19 :: v_dual_add_nc_u32 v20, 0x188, v18
	v_add_nc_u32_e32 v22, 0xa8, v108
	v_lshlrev_b64_e32 v[16:17], 3, v[18:19]
	v_dual_mov_b32 v26, v19 :: v_dual_add_nc_u32 v25, 0x310, v18
	s_delay_alu instid0(VALU_DEP_4) | instskip(NEXT) | instid1(VALU_DEP_4)
	v_lshlrev_b64_e32 v[20:21], 3, v[20:21]
	v_mul_hi_u32 v29, 0x5397829d, v22
	v_dual_mov_b32 v28, v19 :: v_dual_add_nc_u32 v27, 0x498, v18
	v_add_co_u32 v16, vcc_lo, v38, v16
	v_lshlrev_b64_e32 v[25:26], 3, v[25:26]
	v_add_nc_u32_e32 v18, 0x620, v18
	s_wait_alu 0xfffd
	v_add_co_ci_u32_e32 v17, vcc_lo, v41, v17, vcc_lo
	v_add_co_u32 v20, vcc_lo, v38, v20
	v_lshlrev_b64_e32 v[27:28], 3, v[27:28]
	s_wait_alu 0xfffd
	v_add_co_ci_u32_e32 v21, vcc_lo, v41, v21, vcc_lo
	v_lshrrev_b32_e32 v31, 7, v29
	v_add_co_u32 v25, vcc_lo, v38, v25
	v_lshlrev_b64_e32 v[29:30], 3, v[18:19]
	s_wait_alu 0xfffd
	v_add_co_ci_u32_e32 v26, vcc_lo, v41, v26, vcc_lo
	v_add_co_u32 v27, vcc_lo, v38, v27
	v_mul_u32_u24_e32 v18, 0x188, v31
	s_wait_alu 0xfffd
	v_add_co_ci_u32_e32 v28, vcc_lo, v41, v28, vcc_lo
	v_add_co_u32 v29, vcc_lo, v38, v29
	s_wait_alu 0xfffd
	v_add_co_ci_u32_e32 v30, vcc_lo, v41, v30, vcc_lo
	v_sub_nc_u32_e32 v18, v22, v18
	s_clause 0x4
	global_store_b64 v[16:17], v[23:24], off
	global_store_b64 v[20:21], v[8:9], off
	;; [unrolled: 1-line block ×5, first 2 shown]
	v_dual_mov_b32 v11, v19 :: v_dual_add_nc_u32 v20, 0xe0, v108
	v_mov_b32_e32 v13, v19
	v_mad_u32_u24 v18, 0x7a8, v31, v18
	v_mov_b32_e32 v15, v19
	s_delay_alu instid0(VALU_DEP_4)
	v_mul_hi_u32 v16, 0x5397829d, v20
	v_fmac_f32_e32 v56, 0xbf737871, v116
	v_dual_fmac_f32 v58, 0xbf167918, v116 :: v_dual_fmac_f32 v57, 0xbf167918, v114
	v_add_nc_u32_e32 v10, 0x188, v18
	v_lshlrev_b64_e32 v[8:9], 3, v[18:19]
	v_add_nc_u32_e32 v12, 0x310, v18
	v_add_nc_u32_e32 v14, 0x498, v18
	;; [unrolled: 1-line block ×3, first 2 shown]
	v_lshrrev_b32_e32 v21, 7, v16
	v_lshlrev_b64_e32 v[10:11], 3, v[10:11]
	v_add_co_u32 v8, vcc_lo, v38, v8
	v_lshlrev_b64_e32 v[12:13], 3, v[12:13]
	v_lshlrev_b64_e32 v[16:17], 3, v[18:19]
	v_mul_u32_u24_e32 v18, 0x188, v21
	s_wait_alu 0xfffd
	v_add_co_ci_u32_e32 v9, vcc_lo, v41, v9, vcc_lo
	v_add_co_u32 v10, vcc_lo, v38, v10
	v_lshlrev_b64_e32 v[14:15], 3, v[14:15]
	s_wait_alu 0xfffd
	v_add_co_ci_u32_e32 v11, vcc_lo, v41, v11, vcc_lo
	v_sub_nc_u32_e32 v18, v20, v18
	v_add_co_u32 v12, vcc_lo, v38, v12
	s_wait_alu 0xfffd
	v_add_co_ci_u32_e32 v13, vcc_lo, v41, v13, vcc_lo
	v_add_co_u32 v14, vcc_lo, v38, v14
	v_mad_u32_u24 v18, 0x7a8, v21, v18
	v_add_nc_u32_e32 v20, 0x118, v108
	s_wait_alu 0xfffd
	v_add_co_ci_u32_e32 v15, vcc_lo, v41, v15, vcc_lo
	v_add_co_u32 v16, vcc_lo, v38, v16
	s_wait_alu 0xfffd
	v_add_co_ci_u32_e32 v17, vcc_lo, v41, v17, vcc_lo
	s_clause 0x4
	global_store_b64 v[8:9], v[75:76], off
	global_store_b64 v[10:11], v[73:74], off
	;; [unrolled: 1-line block ×5, first 2 shown]
	v_dual_mov_b32 v11, v19 :: v_dual_add_nc_u32 v10, 0x188, v18
	v_mul_hi_u32 v16, 0x5397829d, v20
	v_lshlrev_b64_e32 v[8:9], 3, v[18:19]
	v_dual_mov_b32 v13, v19 :: v_dual_add_nc_u32 v12, 0x310, v18
	s_delay_alu instid0(VALU_DEP_4) | instskip(SKIP_1) | instid1(VALU_DEP_4)
	v_lshlrev_b64_e32 v[10:11], 3, v[10:11]
	v_dual_mov_b32 v15, v19 :: v_dual_add_nc_u32 v14, 0x498, v18
	v_add_co_u32 v8, vcc_lo, v38, v8
	s_delay_alu instid0(VALU_DEP_4)
	v_lshlrev_b64_e32 v[12:13], 3, v[12:13]
	v_add_nc_u32_e32 v18, 0x620, v18
	v_lshrrev_b32_e32 v21, 7, v16
	s_wait_alu 0xfffd
	v_add_co_ci_u32_e32 v9, vcc_lo, v41, v9, vcc_lo
	v_add_co_u32 v10, vcc_lo, v38, v10
	v_lshlrev_b64_e32 v[14:15], 3, v[14:15]
	s_wait_alu 0xfffd
	v_add_co_ci_u32_e32 v11, vcc_lo, v41, v11, vcc_lo
	v_lshlrev_b64_e32 v[16:17], 3, v[18:19]
	v_mul_u32_u24_e32 v18, 0x188, v21
	v_add_co_u32 v12, vcc_lo, v38, v12
	v_dual_fmac_f32 v61, 0x3f167918, v114 :: v_dual_fmac_f32 v56, 0x3f167918, v115
	s_wait_alu 0xfffd
	v_add_co_ci_u32_e32 v13, vcc_lo, v41, v13, vcc_lo
	v_add_co_u32 v14, vcc_lo, v38, v14
	v_sub_nc_u32_e32 v18, v20, v18
	v_add_nc_u32_e32 v20, 0x150, v108
	v_dual_fmac_f32 v57, 0x3e9e377a, v120 :: v_dual_fmac_f32 v54, 0x3e9e377a, v161
	s_wait_alu 0xfffd
	v_add_co_ci_u32_e32 v15, vcc_lo, v41, v15, vcc_lo
	v_dual_fmac_f32 v61, 0x3e9e377a, v120 :: v_dual_fmac_f32 v56, 0x3e9e377a, v118
	v_add_co_u32 v16, vcc_lo, v38, v16
	v_dual_fmac_f32 v59, 0x3e9e377a, v160 :: v_dual_fmac_f32 v60, 0x3e9e377a, v118
	v_dual_fmac_f32 v45, 0x3e9e377a, v159 :: v_dual_fmac_f32 v58, 0x3e9e377a, v161
	s_wait_alu 0xfffd
	v_add_co_ci_u32_e32 v17, vcc_lo, v41, v17, vcc_lo
	s_clause 0x4
	global_store_b64 v[8:9], v[62:63], off
	global_store_b64 v[10:11], v[54:55], off
	;; [unrolled: 1-line block ×5, first 2 shown]
	v_mul_hi_u32 v16, 0x5397829d, v20
	v_mad_u32_u24 v18, 0x7a8, v21, v18
	v_mov_b32_e32 v11, v19
	v_mov_b32_e32 v13, v19
	;; [unrolled: 1-line block ×3, first 2 shown]
	v_dual_fmac_f32 v51, 0x3e9e377a, v159 :: v_dual_fmac_f32 v42, 0x3e9e377a, v158
	v_add_nc_u32_e32 v10, 0x188, v18
	v_lshrrev_b32_e32 v21, 7, v16
	v_lshlrev_b64_e32 v[8:9], 3, v[18:19]
	v_add_nc_u32_e32 v12, 0x310, v18
	v_add_nc_u32_e32 v14, 0x498, v18
	;; [unrolled: 1-line block ×3, first 2 shown]
	v_mul_u32_u24_e32 v22, 0x188, v21
	v_lshlrev_b64_e32 v[10:11], 3, v[10:11]
	v_add_co_u32 v8, vcc_lo, v38, v8
	v_lshlrev_b64_e32 v[12:13], 3, v[12:13]
	v_lshlrev_b64_e32 v[16:17], 3, v[18:19]
	v_sub_nc_u32_e32 v18, v20, v22
	s_wait_alu 0xfffd
	v_add_co_ci_u32_e32 v9, vcc_lo, v41, v9, vcc_lo
	v_add_co_u32 v10, vcc_lo, v38, v10
	v_lshlrev_b64_e32 v[14:15], 3, v[14:15]
	s_wait_alu 0xfffd
	v_add_co_ci_u32_e32 v11, vcc_lo, v41, v11, vcc_lo
	v_add_co_u32 v12, vcc_lo, v38, v12
	v_mad_u32_u24 v18, 0x7a8, v21, v18
	s_wait_alu 0xfffd
	v_add_co_ci_u32_e32 v13, vcc_lo, v41, v13, vcc_lo
	v_add_co_u32 v14, vcc_lo, v38, v14
	s_wait_alu 0xfffd
	v_add_co_ci_u32_e32 v15, vcc_lo, v41, v15, vcc_lo
	v_dual_mov_b32 v21, v19 :: v_dual_add_nc_u32 v20, 0x188, v18
	s_clause 0x3
	global_store_b64 v[8:9], v[52:53], off
	global_store_b64 v[10:11], v[42:43], off
	;; [unrolled: 1-line block ×4, first 2 shown]
	v_lshlrev_b64_e32 v[8:9], 3, v[18:19]
	v_dual_mov_b32 v13, v19 :: v_dual_add_nc_u32 v12, 0x310, v18
	v_add_co_u32 v16, vcc_lo, v38, v16
	v_lshlrev_b64_e32 v[10:11], 3, v[20:21]
	v_dual_mov_b32 v15, v19 :: v_dual_add_nc_u32 v14, 0x498, v18
	s_wait_alu 0xfffd
	v_add_co_ci_u32_e32 v17, vcc_lo, v41, v17, vcc_lo
	v_add_co_u32 v8, vcc_lo, v38, v8
	v_lshlrev_b64_e32 v[12:13], 3, v[12:13]
	v_add_nc_u32_e32 v18, 0x620, v18
	s_wait_alu 0xfffd
	v_add_co_ci_u32_e32 v9, vcc_lo, v41, v9, vcc_lo
	v_add_co_u32 v10, vcc_lo, v38, v10
	v_lshlrev_b64_e32 v[14:15], 3, v[14:15]
	s_wait_alu 0xfffd
	v_add_co_ci_u32_e32 v11, vcc_lo, v41, v11, vcc_lo
	global_store_b64 v[16:17], v[46:47], off
	v_add_co_u32 v12, vcc_lo, v38, v12
	v_lshlrev_b64_e32 v[16:17], 3, v[18:19]
	s_wait_alu 0xfffd
	v_add_co_ci_u32_e32 v13, vcc_lo, v41, v13, vcc_lo
	v_add_co_u32 v14, vcc_lo, v38, v14
	s_wait_alu 0xfffd
	v_add_co_ci_u32_e32 v15, vcc_lo, v41, v15, vcc_lo
	v_add_co_u32 v16, vcc_lo, v38, v16
	s_wait_alu 0xfffd
	v_add_co_ci_u32_e32 v17, vcc_lo, v41, v17, vcc_lo
	s_clause 0x4
	global_store_b64 v[8:9], v[39:40], off
	global_store_b64 v[10:11], v[0:1], off
	;; [unrolled: 1-line block ×5, first 2 shown]
.LBB0_29:
	s_nop 0
	s_sendmsg sendmsg(MSG_DEALLOC_VGPRS)
	s_endpgm
	.section	.rodata,"a",@progbits
	.p2align	6, 0x0
	.amdhsa_kernel fft_rtc_fwd_len1960_factors_4_7_2_7_5_wgs_56_tpt_56_halfLds_sp_op_CI_CI_unitstride_sbrr_dirReg
		.amdhsa_group_segment_fixed_size 0
		.amdhsa_private_segment_fixed_size 0
		.amdhsa_kernarg_size 104
		.amdhsa_user_sgpr_count 2
		.amdhsa_user_sgpr_dispatch_ptr 0
		.amdhsa_user_sgpr_queue_ptr 0
		.amdhsa_user_sgpr_kernarg_segment_ptr 1
		.amdhsa_user_sgpr_dispatch_id 0
		.amdhsa_user_sgpr_private_segment_size 0
		.amdhsa_wavefront_size32 1
		.amdhsa_uses_dynamic_stack 0
		.amdhsa_enable_private_segment 0
		.amdhsa_system_sgpr_workgroup_id_x 1
		.amdhsa_system_sgpr_workgroup_id_y 0
		.amdhsa_system_sgpr_workgroup_id_z 0
		.amdhsa_system_sgpr_workgroup_info 0
		.amdhsa_system_vgpr_workitem_id 0
		.amdhsa_next_free_vgpr 167
		.amdhsa_next_free_sgpr 39
		.amdhsa_reserve_vcc 1
		.amdhsa_float_round_mode_32 0
		.amdhsa_float_round_mode_16_64 0
		.amdhsa_float_denorm_mode_32 3
		.amdhsa_float_denorm_mode_16_64 3
		.amdhsa_fp16_overflow 0
		.amdhsa_workgroup_processor_mode 1
		.amdhsa_memory_ordered 1
		.amdhsa_forward_progress 0
		.amdhsa_round_robin_scheduling 0
		.amdhsa_exception_fp_ieee_invalid_op 0
		.amdhsa_exception_fp_denorm_src 0
		.amdhsa_exception_fp_ieee_div_zero 0
		.amdhsa_exception_fp_ieee_overflow 0
		.amdhsa_exception_fp_ieee_underflow 0
		.amdhsa_exception_fp_ieee_inexact 0
		.amdhsa_exception_int_div_zero 0
	.end_amdhsa_kernel
	.text
.Lfunc_end0:
	.size	fft_rtc_fwd_len1960_factors_4_7_2_7_5_wgs_56_tpt_56_halfLds_sp_op_CI_CI_unitstride_sbrr_dirReg, .Lfunc_end0-fft_rtc_fwd_len1960_factors_4_7_2_7_5_wgs_56_tpt_56_halfLds_sp_op_CI_CI_unitstride_sbrr_dirReg
                                        ; -- End function
	.section	.AMDGPU.csdata,"",@progbits
; Kernel info:
; codeLenInByte = 20688
; NumSgprs: 41
; NumVgprs: 167
; ScratchSize: 0
; MemoryBound: 0
; FloatMode: 240
; IeeeMode: 1
; LDSByteSize: 0 bytes/workgroup (compile time only)
; SGPRBlocks: 5
; VGPRBlocks: 20
; NumSGPRsForWavesPerEU: 41
; NumVGPRsForWavesPerEU: 167
; Occupancy: 9
; WaveLimiterHint : 1
; COMPUTE_PGM_RSRC2:SCRATCH_EN: 0
; COMPUTE_PGM_RSRC2:USER_SGPR: 2
; COMPUTE_PGM_RSRC2:TRAP_HANDLER: 0
; COMPUTE_PGM_RSRC2:TGID_X_EN: 1
; COMPUTE_PGM_RSRC2:TGID_Y_EN: 0
; COMPUTE_PGM_RSRC2:TGID_Z_EN: 0
; COMPUTE_PGM_RSRC2:TIDIG_COMP_CNT: 0
	.text
	.p2alignl 7, 3214868480
	.fill 96, 4, 3214868480
	.type	__hip_cuid_e66ed1efb79022b3,@object ; @__hip_cuid_e66ed1efb79022b3
	.section	.bss,"aw",@nobits
	.globl	__hip_cuid_e66ed1efb79022b3
__hip_cuid_e66ed1efb79022b3:
	.byte	0                               ; 0x0
	.size	__hip_cuid_e66ed1efb79022b3, 1

	.ident	"AMD clang version 19.0.0git (https://github.com/RadeonOpenCompute/llvm-project roc-6.4.0 25133 c7fe45cf4b819c5991fe208aaa96edf142730f1d)"
	.section	".note.GNU-stack","",@progbits
	.addrsig
	.addrsig_sym __hip_cuid_e66ed1efb79022b3
	.amdgpu_metadata
---
amdhsa.kernels:
  - .args:
      - .actual_access:  read_only
        .address_space:  global
        .offset:         0
        .size:           8
        .value_kind:     global_buffer
      - .offset:         8
        .size:           8
        .value_kind:     by_value
      - .actual_access:  read_only
        .address_space:  global
        .offset:         16
        .size:           8
        .value_kind:     global_buffer
      - .actual_access:  read_only
        .address_space:  global
        .offset:         24
        .size:           8
        .value_kind:     global_buffer
      - .actual_access:  read_only
        .address_space:  global
        .offset:         32
        .size:           8
        .value_kind:     global_buffer
      - .offset:         40
        .size:           8
        .value_kind:     by_value
      - .actual_access:  read_only
        .address_space:  global
        .offset:         48
        .size:           8
        .value_kind:     global_buffer
      - .actual_access:  read_only
        .address_space:  global
        .offset:         56
        .size:           8
        .value_kind:     global_buffer
      - .offset:         64
        .size:           4
        .value_kind:     by_value
      - .actual_access:  read_only
        .address_space:  global
        .offset:         72
        .size:           8
        .value_kind:     global_buffer
      - .actual_access:  read_only
        .address_space:  global
        .offset:         80
        .size:           8
        .value_kind:     global_buffer
      - .actual_access:  read_only
        .address_space:  global
        .offset:         88
        .size:           8
        .value_kind:     global_buffer
      - .actual_access:  write_only
        .address_space:  global
        .offset:         96
        .size:           8
        .value_kind:     global_buffer
    .group_segment_fixed_size: 0
    .kernarg_segment_align: 8
    .kernarg_segment_size: 104
    .language:       OpenCL C
    .language_version:
      - 2
      - 0
    .max_flat_workgroup_size: 56
    .name:           fft_rtc_fwd_len1960_factors_4_7_2_7_5_wgs_56_tpt_56_halfLds_sp_op_CI_CI_unitstride_sbrr_dirReg
    .private_segment_fixed_size: 0
    .sgpr_count:     41
    .sgpr_spill_count: 0
    .symbol:         fft_rtc_fwd_len1960_factors_4_7_2_7_5_wgs_56_tpt_56_halfLds_sp_op_CI_CI_unitstride_sbrr_dirReg.kd
    .uniform_work_group_size: 1
    .uses_dynamic_stack: false
    .vgpr_count:     167
    .vgpr_spill_count: 0
    .wavefront_size: 32
    .workgroup_processor_mode: 1
amdhsa.target:   amdgcn-amd-amdhsa--gfx1201
amdhsa.version:
  - 1
  - 2
...

	.end_amdgpu_metadata
